;; amdgpu-corpus repo=ROCm/rocFFT kind=compiled arch=gfx950 opt=O3
	.text
	.amdgcn_target "amdgcn-amd-amdhsa--gfx950"
	.amdhsa_code_object_version 6
	.protected	fft_rtc_back_len3600_factors_10_10_6_6_wgs_120_tpt_120_halfLds_sp_op_CI_CI_sbrr_dirReg ; -- Begin function fft_rtc_back_len3600_factors_10_10_6_6_wgs_120_tpt_120_halfLds_sp_op_CI_CI_sbrr_dirReg
	.globl	fft_rtc_back_len3600_factors_10_10_6_6_wgs_120_tpt_120_halfLds_sp_op_CI_CI_sbrr_dirReg
	.p2align	8
	.type	fft_rtc_back_len3600_factors_10_10_6_6_wgs_120_tpt_120_halfLds_sp_op_CI_CI_sbrr_dirReg,@function
fft_rtc_back_len3600_factors_10_10_6_6_wgs_120_tpt_120_halfLds_sp_op_CI_CI_sbrr_dirReg: ; @fft_rtc_back_len3600_factors_10_10_6_6_wgs_120_tpt_120_halfLds_sp_op_CI_CI_sbrr_dirReg
; %bb.0:
	s_load_dwordx4 s[12:15], s[0:1], 0x18
	s_load_dwordx4 s[8:11], s[0:1], 0x0
	;; [unrolled: 1-line block ×3, first 2 shown]
	v_mul_u32_u24_e32 v1, 0x223, v0
	v_add_u32_sdwa v4, s2, v1 dst_sel:DWORD dst_unused:UNUSED_PAD src0_sel:DWORD src1_sel:WORD_1
	s_waitcnt lgkmcnt(0)
	s_load_dwordx2 s[18:19], s[12:13], 0x0
	s_load_dwordx2 s[16:17], s[14:15], 0x0
	v_mov_b32_e32 v2, 0
	v_cmp_lt_u64_e64 s[2:3], s[10:11], 2
	v_mov_b32_e32 v5, v2
	s_and_b64 vcc, exec, s[2:3]
	v_mov_b64_e32 v[68:69], 0
	s_cbranch_vccnz .LBB0_8
; %bb.1:
	s_load_dwordx2 s[2:3], s[0:1], 0x10
	s_add_u32 s20, s14, 8
	s_addc_u32 s21, s15, 0
	s_add_u32 s22, s12, 8
	s_addc_u32 s23, s13, 0
	s_waitcnt lgkmcnt(0)
	s_add_u32 s24, s2, 8
	v_mov_b64_e32 v[68:69], 0
	s_addc_u32 s25, s3, 0
	s_mov_b64 s[26:27], 1
	v_mov_b64_e32 v[36:37], v[68:69]
.LBB0_2:                                ; =>This Inner Loop Header: Depth=1
	s_load_dwordx2 s[28:29], s[24:25], 0x0
                                        ; implicit-def: $vgpr38_vgpr39
	s_waitcnt lgkmcnt(0)
	v_or_b32_e32 v3, s29, v5
	v_cmp_ne_u64_e32 vcc, 0, v[2:3]
	s_and_saveexec_b64 s[2:3], vcc
	s_xor_b64 s[30:31], exec, s[2:3]
	s_cbranch_execz .LBB0_4
; %bb.3:                                ;   in Loop: Header=BB0_2 Depth=1
	v_cvt_f32_u32_e32 v1, s28
	v_cvt_f32_u32_e32 v3, s29
	s_sub_u32 s2, 0, s28
	s_subb_u32 s3, 0, s29
	v_fmac_f32_e32 v1, 0x4f800000, v3
	v_rcp_f32_e32 v1, v1
	s_nop 0
	v_mul_f32_e32 v1, 0x5f7ffffc, v1
	v_mul_f32_e32 v3, 0x2f800000, v1
	v_trunc_f32_e32 v3, v3
	v_fmac_f32_e32 v1, 0xcf800000, v3
	v_cvt_u32_f32_e32 v3, v3
	v_cvt_u32_f32_e32 v1, v1
	v_mul_lo_u32 v6, s2, v3
	v_mul_hi_u32 v8, s2, v1
	v_mul_lo_u32 v7, s3, v1
	v_add_u32_e32 v8, v8, v6
	v_mul_lo_u32 v10, s2, v1
	v_add_u32_e32 v11, v8, v7
	v_mul_hi_u32 v6, v1, v10
	v_mul_hi_u32 v9, v1, v11
	v_mul_lo_u32 v8, v1, v11
	v_mov_b32_e32 v7, v2
	v_lshl_add_u64 v[6:7], v[6:7], 0, v[8:9]
	v_mul_hi_u32 v9, v3, v10
	v_mul_lo_u32 v10, v3, v10
	v_add_co_u32_e32 v6, vcc, v6, v10
	v_mul_hi_u32 v8, v3, v11
	s_nop 0
	v_addc_co_u32_e32 v6, vcc, v7, v9, vcc
	v_mov_b32_e32 v7, v2
	s_nop 0
	v_addc_co_u32_e32 v9, vcc, 0, v8, vcc
	v_mul_lo_u32 v8, v3, v11
	v_lshl_add_u64 v[6:7], v[6:7], 0, v[8:9]
	v_add_co_u32_e32 v1, vcc, v1, v6
	v_mul_lo_u32 v8, s2, v1
	s_nop 0
	v_addc_co_u32_e32 v3, vcc, v3, v7, vcc
	v_mul_lo_u32 v6, s2, v3
	v_mul_hi_u32 v7, s2, v1
	v_add_u32_e32 v6, v7, v6
	v_mul_lo_u32 v7, s3, v1
	v_add_u32_e32 v10, v6, v7
	v_mul_hi_u32 v12, v3, v8
	v_mul_lo_u32 v13, v3, v8
	v_mul_hi_u32 v7, v1, v10
	v_mul_lo_u32 v6, v1, v10
	v_mul_hi_u32 v8, v1, v8
	v_mov_b32_e32 v9, v2
	v_lshl_add_u64 v[6:7], v[8:9], 0, v[6:7]
	v_add_co_u32_e32 v6, vcc, v6, v13
	v_mul_hi_u32 v11, v3, v10
	s_nop 0
	v_addc_co_u32_e32 v6, vcc, v7, v12, vcc
	v_mul_lo_u32 v8, v3, v10
	s_nop 0
	v_addc_co_u32_e32 v9, vcc, 0, v11, vcc
	v_mov_b32_e32 v7, v2
	v_lshl_add_u64 v[6:7], v[6:7], 0, v[8:9]
	v_add_co_u32_e32 v1, vcc, v1, v6
	v_mul_hi_u32 v8, v4, v1
	s_nop 0
	v_addc_co_u32_e32 v3, vcc, v3, v7, vcc
	v_mad_u64_u32 v[6:7], s[2:3], v4, v3, 0
	v_mov_b32_e32 v9, v2
	v_lshl_add_u64 v[6:7], v[8:9], 0, v[6:7]
	v_mad_u64_u32 v[10:11], s[2:3], v5, v1, 0
	v_add_co_u32_e32 v1, vcc, v6, v10
	v_mad_u64_u32 v[8:9], s[2:3], v5, v3, 0
	s_nop 0
	v_addc_co_u32_e32 v6, vcc, v7, v11, vcc
	v_mov_b32_e32 v7, v2
	s_nop 0
	v_addc_co_u32_e32 v9, vcc, 0, v9, vcc
	v_lshl_add_u64 v[6:7], v[6:7], 0, v[8:9]
	v_mul_lo_u32 v1, s29, v6
	v_mul_lo_u32 v3, s28, v7
	v_mad_u64_u32 v[8:9], s[2:3], s28, v6, 0
	v_add3_u32 v1, v9, v3, v1
	v_sub_u32_e32 v3, v5, v1
	v_mov_b32_e32 v9, s29
	v_sub_co_u32_e32 v12, vcc, v4, v8
	v_lshl_add_u64 v[10:11], v[6:7], 0, 1
	s_nop 0
	v_subb_co_u32_e64 v3, s[2:3], v3, v9, vcc
	v_subrev_co_u32_e64 v8, s[2:3], s28, v12
	v_subb_co_u32_e32 v1, vcc, v5, v1, vcc
	s_nop 0
	v_subbrev_co_u32_e64 v3, s[2:3], 0, v3, s[2:3]
	v_cmp_le_u32_e64 s[2:3], s29, v3
	v_cmp_le_u32_e32 vcc, s29, v1
	s_nop 0
	v_cndmask_b32_e64 v9, 0, -1, s[2:3]
	v_cmp_le_u32_e64 s[2:3], s28, v8
	s_nop 1
	v_cndmask_b32_e64 v8, 0, -1, s[2:3]
	v_cmp_eq_u32_e64 s[2:3], s29, v3
	s_nop 1
	v_cndmask_b32_e64 v3, v9, v8, s[2:3]
	v_lshl_add_u64 v[8:9], v[6:7], 0, 2
	v_cmp_ne_u32_e64 s[2:3], 0, v3
	s_nop 1
	v_cndmask_b32_e64 v3, v11, v9, s[2:3]
	v_cndmask_b32_e64 v9, 0, -1, vcc
	v_cmp_le_u32_e32 vcc, s28, v12
	s_nop 1
	v_cndmask_b32_e64 v11, 0, -1, vcc
	v_cmp_eq_u32_e32 vcc, s29, v1
	s_nop 1
	v_cndmask_b32_e32 v1, v9, v11, vcc
	v_cmp_ne_u32_e32 vcc, 0, v1
	v_cndmask_b32_e64 v1, v10, v8, s[2:3]
	s_nop 0
	v_cndmask_b32_e32 v39, v7, v3, vcc
	v_cndmask_b32_e32 v38, v6, v1, vcc
.LBB0_4:                                ;   in Loop: Header=BB0_2 Depth=1
	s_andn2_saveexec_b64 s[2:3], s[30:31]
	s_cbranch_execz .LBB0_6
; %bb.5:                                ;   in Loop: Header=BB0_2 Depth=1
	v_cvt_f32_u32_e32 v1, s28
	s_sub_i32 s30, 0, s28
	v_mov_b32_e32 v39, v2
	v_rcp_iflag_f32_e32 v1, v1
	s_nop 0
	v_mul_f32_e32 v1, 0x4f7ffffe, v1
	v_cvt_u32_f32_e32 v1, v1
	v_mul_lo_u32 v3, s30, v1
	v_mul_hi_u32 v3, v1, v3
	v_add_u32_e32 v1, v1, v3
	v_mul_hi_u32 v1, v4, v1
	v_mul_lo_u32 v3, v1, s28
	v_sub_u32_e32 v3, v4, v3
	v_add_u32_e32 v6, 1, v1
	v_subrev_u32_e32 v7, s28, v3
	v_cmp_le_u32_e32 vcc, s28, v3
	s_nop 1
	v_cndmask_b32_e32 v3, v3, v7, vcc
	v_cndmask_b32_e32 v1, v1, v6, vcc
	v_add_u32_e32 v6, 1, v1
	v_cmp_le_u32_e32 vcc, s28, v3
	s_nop 1
	v_cndmask_b32_e32 v38, v1, v6, vcc
.LBB0_6:                                ;   in Loop: Header=BB0_2 Depth=1
	s_or_b64 exec, exec, s[2:3]
	v_mad_u64_u32 v[6:7], s[2:3], v38, s28, 0
	s_load_dwordx2 s[2:3], s[22:23], 0x0
	v_mul_lo_u32 v1, v39, s28
	v_mul_lo_u32 v3, v38, s29
	s_load_dwordx2 s[28:29], s[20:21], 0x0
	s_add_u32 s26, s26, 1
	v_add3_u32 v1, v7, v3, v1
	v_sub_co_u32_e32 v3, vcc, v4, v6
	s_addc_u32 s27, s27, 0
	s_nop 0
	v_subb_co_u32_e32 v1, vcc, v5, v1, vcc
	s_add_u32 s20, s20, 8
	s_waitcnt lgkmcnt(0)
	v_mul_lo_u32 v4, s2, v1
	v_mul_lo_u32 v5, s3, v3
	v_mad_u64_u32 v[68:69], s[2:3], s2, v3, v[68:69]
	s_addc_u32 s21, s21, 0
	v_add3_u32 v69, v5, v69, v4
	v_mul_lo_u32 v1, s28, v1
	v_mul_lo_u32 v4, s29, v3
	v_mad_u64_u32 v[36:37], s[2:3], s28, v3, v[36:37]
	s_add_u32 s22, s22, 8
	v_add3_u32 v37, v4, v37, v1
	s_addc_u32 s23, s23, 0
	v_mov_b64_e32 v[4:5], s[10:11]
	s_add_u32 s24, s24, 8
	v_cmp_ge_u64_e32 vcc, s[26:27], v[4:5]
	s_addc_u32 s25, s25, 0
	s_cbranch_vccnz .LBB0_9
; %bb.7:                                ;   in Loop: Header=BB0_2 Depth=1
	v_mov_b64_e32 v[4:5], v[38:39]
	s_branch .LBB0_2
.LBB0_8:
	v_mov_b64_e32 v[36:37], v[68:69]
	v_mov_b64_e32 v[38:39], v[4:5]
.LBB0_9:
	s_load_dwordx2 s[0:1], s[0:1], 0x28
	s_lshl_b64 s[10:11], s[10:11], 3
	s_add_u32 s2, s14, s10
	s_addc_u32 s3, s15, s11
                                        ; implicit-def: $vgpr40_vgpr41
                                        ; implicit-def: $vgpr134
                                        ; implicit-def: $vgpr135
                                        ; implicit-def: $vgpr136
	s_waitcnt lgkmcnt(0)
	v_cmp_gt_u64_e32 vcc, s[0:1], v[38:39]
	v_cmp_le_u64_e64 s[0:1], s[0:1], v[38:39]
	s_and_saveexec_b64 s[14:15], s[0:1]
	s_xor_b64 s[0:1], exec, s[14:15]
; %bb.10:
	s_mov_b32 s14, 0x2222223
	v_mul_hi_u32 v1, v0, s14
	v_mul_u32_u24_e32 v1, 0x78, v1
	v_sub_u32_e32 v134, v0, v1
	v_add_u32_e32 v135, 0x78, v134
	v_add_u32_e32 v41, 0xf0, v134
	;; [unrolled: 1-line block ×4, first 2 shown]
                                        ; implicit-def: $vgpr0
                                        ; implicit-def: $vgpr68_vgpr69
; %bb.11:
	s_or_saveexec_b64 s[0:1], s[0:1]
                                        ; implicit-def: $vgpr14
                                        ; implicit-def: $vgpr46
                                        ; implicit-def: $vgpr18
                                        ; implicit-def: $vgpr66
                                        ; implicit-def: $vgpr50
                                        ; implicit-def: $vgpr70
                                        ; implicit-def: $vgpr8
                                        ; implicit-def: $vgpr34
                                        ; implicit-def: $vgpr32
                                        ; implicit-def: $vgpr42
                                        ; implicit-def: $vgpr44
                                        ; implicit-def: $vgpr16
                                        ; implicit-def: $vgpr58
                                        ; implicit-def: $vgpr56
                                        ; implicit-def: $vgpr60
                                        ; implicit-def: $vgpr64
                                        ; implicit-def: $vgpr48
                                        ; implicit-def: $vgpr82
                                        ; implicit-def: $vgpr78
                                        ; implicit-def: $vgpr86
                                        ; implicit-def: $vgpr90
                                        ; implicit-def: $vgpr2
                                        ; implicit-def: $vgpr6
                                        ; implicit-def: $vgpr22
                                        ; implicit-def: $vgpr4
                                        ; implicit-def: $vgpr12
                                        ; implicit-def: $vgpr30
                                        ; implicit-def: $vgpr52
                                        ; implicit-def: $vgpr10
                                        ; implicit-def: $vgpr20
                                        ; implicit-def: $vgpr28
                                        ; implicit-def: $vgpr62
                                        ; implicit-def: $vgpr24
                                        ; implicit-def: $vgpr54
                                        ; implicit-def: $vgpr26
                                        ; implicit-def: $vgpr88
	s_xor_b64 exec, exec, s[0:1]
	s_cbranch_execz .LBB0_13
; %bb.12:
	s_add_u32 s10, s12, s10
	s_addc_u32 s11, s13, s11
	s_load_dwordx2 s[10:11], s[10:11], 0x0
	s_mov_b32 s12, 0x2222223
	s_waitcnt lgkmcnt(0)
	v_mul_lo_u32 v1, s11, v38
	v_mul_lo_u32 v2, s10, v39
	v_mad_u64_u32 v[4:5], s[10:11], s10, v38, 0
	v_add3_u32 v5, v5, v2, v1
	v_mul_hi_u32 v1, v0, s12
	v_mul_u32_u24_e32 v1, 0x78, v1
	v_sub_u32_e32 v134, v0, v1
	v_mad_u64_u32 v[2:3], s[10:11], s18, v134, 0
	v_mov_b32_e32 v0, v3
	v_mad_u64_u32 v[0:1], s[10:11], s19, v134, v[0:1]
	v_add_u32_e32 v7, 0x2d0, v134
	v_mov_b32_e32 v3, v0
	v_lshl_add_u64 v[0:1], v[4:5], 3, s[4:5]
	v_mad_u64_u32 v[4:5], s[4:5], s18, v7, 0
	v_mov_b32_e32 v6, v5
	v_mad_u64_u32 v[6:7], s[4:5], s19, v7, v[6:7]
	v_add_u32_e32 v9, 0x438, v134
	v_mov_b32_e32 v5, v6
	v_mad_u64_u32 v[6:7], s[4:5], s18, v9, 0
	v_mov_b32_e32 v8, v7
	v_mad_u64_u32 v[8:9], s[4:5], s19, v9, v[8:9]
	v_add_u32_e32 v11, 0x5a0, v134
	v_mov_b32_e32 v7, v8
	;; [unrolled: 5-line block ×10, first 2 shown]
	v_mad_u64_u32 v[24:25], s[4:5], s18, v27, 0
	v_mov_b32_e32 v26, v25
	v_mad_u64_u32 v[26:27], s[4:5], s19, v27, v[26:27]
	v_lshl_add_u64 v[0:1], v[68:69], 3, v[0:1]
	v_mov_b32_e32 v25, v26
	v_add_u32_e32 v27, 0x4b0, v134
	v_lshl_add_u64 v[48:49], v[24:25], 3, v[0:1]
	v_mad_u64_u32 v[24:25], s[4:5], s18, v27, 0
	v_mov_b32_e32 v26, v25
	v_mad_u64_u32 v[26:27], s[4:5], s19, v27, v[26:27]
	v_add_u32_e32 v29, 0x618, v134
	v_mov_b32_e32 v25, v26
	v_mad_u64_u32 v[26:27], s[4:5], s18, v29, 0
	v_mov_b32_e32 v28, v27
	v_mad_u64_u32 v[28:29], s[4:5], s19, v29, v[28:29]
	v_or_b32_e32 v31, 0x780, v134
	v_mov_b32_e32 v27, v28
	v_mad_u64_u32 v[28:29], s[4:5], s18, v31, 0
	v_mov_b32_e32 v30, v29
	v_mad_u64_u32 v[30:31], s[4:5], s19, v31, v[30:31]
	v_add_u32_e32 v33, 0x8e8, v134
	v_mov_b32_e32 v29, v30
	v_mad_u64_u32 v[30:31], s[4:5], s18, v33, 0
	v_mov_b32_e32 v32, v31
	v_mad_u64_u32 v[32:33], s[4:5], s19, v33, v[32:33]
	v_add_u32_e32 v35, 0xa50, v134
	;; [unrolled: 5-line block ×4, first 2 shown]
	v_mad_u64_u32 v[42:43], s[4:5], s18, v41, 0
	v_mov_b32_e32 v35, v40
	v_mov_b32_e32 v40, v43
	v_mad_u64_u32 v[40:41], s[4:5], s19, v41, v[40:41]
	v_mov_b32_e32 v43, v40
	v_add_u32_e32 v40, 0x168, v134
	v_mad_u64_u32 v[44:45], s[4:5], s18, v40, 0
	v_mov_b32_e32 v46, v45
	v_add_u32_e32 v41, 0xf0, v134
	v_mad_u64_u32 v[46:47], s[4:5], s19, v40, v[46:47]
	v_mov_b32_e32 v45, v46
	v_mad_u64_u32 v[46:47], s[4:5], s18, v41, 0
	v_mov_b32_e32 v50, v47
	v_mad_u64_u32 v[50:51], s[4:5], s19, v41, v[50:51]
	v_add_u32_e32 v53, 0x258, v134
	v_mov_b32_e32 v47, v50
	v_mad_u64_u32 v[50:51], s[4:5], s18, v53, 0
	v_mov_b32_e32 v52, v51
	v_mad_u64_u32 v[52:53], s[4:5], s19, v53, v[52:53]
	v_add_u32_e32 v55, 0x3c0, v134
	;; [unrolled: 5-line block ×9, first 2 shown]
	v_mov_b32_e32 v65, v66
	v_mad_u64_u32 v[66:67], s[4:5], s18, v69, 0
	v_mov_b32_e32 v68, v67
	v_mad_u64_u32 v[68:69], s[4:5], s19, v69, v[68:69]
	v_lshl_add_u64 v[52:53], v[52:53], 3, v[0:1]
	v_mov_b32_e32 v67, v68
	v_lshl_add_u64 v[4:5], v[4:5], 3, v[0:1]
	v_lshl_add_u64 v[72:73], v[6:7], 3, v[0:1]
	;; [unrolled: 1-line block ×28, first 2 shown]
	global_load_dwordx2 v[22:23], v[72:73], off
	global_load_dwordx2 v[88:89], v[8:9], off
	;; [unrolled: 1-line block ×15, first 2 shown]
                                        ; kill: killed $vgpr72_vgpr73
                                        ; kill: killed $vgpr16_vgpr17
                                        ; kill: killed $vgpr76_vgpr77
                                        ; kill: killed $vgpr12_vgpr13
                                        ; kill: killed $vgpr8_vgpr9
                                        ; kill: killed $vgpr18_vgpr19
                                        ; kill: killed $vgpr80_vgpr81
                                        ; kill: killed $vgpr14_vgpr15
                                        ; kill: killed $vgpr52_vgpr53
                                        ; kill: killed $vgpr10_vgpr11
                                        ; kill: killed $vgpr20_vgpr21
                                        ; kill: killed $vgpr28_vgpr29
                                        ; kill: killed $vgpr30_vgpr31
                                        ; kill: killed $vgpr68_vgpr69
                                        ; kill: killed $vgpr4_vgpr5
	global_load_dwordx2 v[12:13], v[48:49], off
	global_load_dwordx2 v[64:65], v[74:75], off
	s_nop 0
	global_load_dwordx2 v[28:29], v[92:93], off
	global_load_dwordx2 v[60:61], v[84:85], off
	;; [unrolled: 1-line block ×13, first 2 shown]
	s_waitcnt vmcnt(29)
	v_mov_b32_e32 v48, v23
	s_waitcnt vmcnt(27)
	v_mov_b32_e32 v23, v110
	;; [unrolled: 2-line block ×3, first 2 shown]
	v_mov_b32_e32 v50, v111
	s_waitcnt vmcnt(25)
	v_mov_b32_e32 v54, v25
	s_waitcnt vmcnt(20)
	;; [unrolled: 2-line block ×6, first 2 shown]
	v_mov_b32_e32 v9, v47
	v_mov_b32_e32 v3, v112
	s_waitcnt vmcnt(14)
	v_mov_b32_e32 v7, v12
	v_mov_b32_e32 v18, v13
	s_waitcnt vmcnt(8)
	v_mov_b32_e32 v20, v11
	s_waitcnt vmcnt(5)
	v_mov_b32_e32 v12, v5
.LBB0_13:
	s_or_b64 exec, exec, s[0:1]
	s_mov_b32 s0, 0x3f737871
	v_mov_b32_e32 v51, v89
	v_mov_b32_e32 v55, v27
	s_mov_b32 s1, 0x3f167918
	v_pk_add_f32 v[74:75], v[26:27], v[88:89]
	v_add_f32_e32 v0, v24, v23
	s_mov_b32 s4, s1
	s_mov_b32 s5, s0
	v_pk_add_f32 v[104:105], v[50:51], v[54:55] neg_lo:[0,1] neg_hi:[0,1]
	v_add_f32_e32 v67, v23, v70
	v_fma_f32 v47, -0.5, v74, v70
	v_fmac_f32_e32 v70, -0.5, v0
	v_pk_mul_f32 v[0:1], v[104:105], s[4:5]
	v_mov_b32_e32 v55, v50
	v_add_f32_e32 v13, v1, v70
	v_sub_f32_e32 v1, v70, v1
	v_mov_b32_e32 v76, v27
	v_mov_b32_e32 v77, v89
	v_sub_f32_e32 v98, v13, v0
	v_add_f32_e32 v99, v0, v1
	v_pk_add_f32 v[0:1], v[54:55], v[76:77] neg_lo:[0,1] neg_hi:[0,1]
	v_mov_b32_e32 v69, v26
	v_mov_b32_e32 v68, v1
	v_pk_add_f32 v[102:103], v[0:1], v[68:69]
	v_mov_b32_e32 v1, v88
	v_pk_add_f32 v[80:81], v[0:1], v[68:69] neg_lo:[0,1] neg_hi:[0,1]
	v_mov_b32_e32 v0, v78
	v_mov_b32_e32 v1, v22
	;; [unrolled: 1-line block ×6, first 2 shown]
	v_pk_add_f32 v[108:109], v[0:1], v[68:69] neg_lo:[0,1] neg_hi:[0,1]
	v_pk_add_f32 v[96:97], v[18:19], v[20:21] neg_lo:[0,1] neg_hi:[0,1]
	v_mov_b32_e32 v21, v18
	v_mov_b32_e32 v68, v29
	;; [unrolled: 1-line block ×3, first 2 shown]
	v_pk_add_f32 v[0:1], v[20:21], v[68:69] neg_lo:[0,1] neg_hi:[0,1]
	v_mov_b32_e32 v71, v28
	v_mov_b32_e32 v70, v1
	v_pk_add_f32 v[114:115], v[0:1], v[70:71]
	v_mov_b32_e32 v1, v62
	v_pk_add_f32 v[72:73], v[0:1], v[70:71] neg_lo:[0,1] neg_hi:[0,1]
	v_mov_b32_e32 v0, v57
	v_mov_b32_e32 v1, v16
	;; [unrolled: 1-line block ×4, first 2 shown]
	v_pk_add_f32 v[0:1], v[0:1], v[70:71] neg_lo:[0,1] neg_hi:[0,1]
	v_mov_b32_e32 v15, v53
	v_mov_b32_e32 v70, v1
	s_waitcnt vmcnt(2)
	v_mov_b32_e32 v13, v31
	v_pk_add_f32 v[116:117], v[0:1], v[70:71]
	v_pk_add_f32 v[92:93], v[14:15], v[12:13] neg_lo:[0,1] neg_hi:[0,1]
	v_mov_b32_e32 v13, v14
	v_mov_b32_e32 v0, v31
	;; [unrolled: 1-line block ×3, first 2 shown]
	v_pk_add_f32 v[70:71], v[12:13], v[0:1] neg_lo:[0,1] neg_hi:[0,1]
	v_mov_b32_e32 v85, v30
	v_mov_b32_e32 v84, v71
	;; [unrolled: 1-line block ×3, first 2 shown]
	v_pk_add_f32 v[120:121], v[70:71], v[84:85]
	v_pk_add_f32 v[70:71], v[14:15], v[84:85] neg_lo:[0,1] neg_hi:[0,1]
	s_waitcnt vmcnt(0)
	v_mov_b32_e32 v84, v33
	v_mov_b32_e32 v85, v8
	;; [unrolled: 1-line block ×4, first 2 shown]
	v_pk_add_f32 v[84:85], v[84:85], v[94:95] neg_lo:[0,1] neg_hi:[0,1]
	v_pk_add_f32 v[94:95], v[34:35], v[32:33] neg_lo:[0,1] neg_hi:[0,1]
	v_mov_b32_e32 v70, v85
	v_pk_add_f32 v[122:123], v[84:85], v[70:71]
	v_mov_b32_e32 v84, v2
	v_mov_b32_e32 v85, v8
	v_pk_add_f32 v[100:101], v[42:43], v[84:85] neg_lo:[0,1] neg_hi:[0,1]
	v_pk_add_f32 v[126:127], v[42:43], v[34:35] neg_lo:[0,1] neg_hi:[0,1]
	v_pk_add_f32 v[94:95], v[94:95], v[100:101]
	v_pk_add_f32 v[100:101], v[32:33], v[84:85]
	v_pk_mul_f32 v[106:107], v[126:127], s[0:1] op_sel_hi:[1,0]
	v_pk_fma_f32 v[100:101], v[100:101], 0.5, v[44:45] op_sel_hi:[1,0,1] neg_lo:[1,0,0] neg_hi:[1,0,0]
	s_mov_b32 s10, s1
	v_pk_add_f32 v[110:111], v[100:101], v[106:107] op_sel:[0,1] op_sel_hi:[1,0] neg_lo:[0,1] neg_hi:[0,1]
	v_pk_add_f32 v[106:107], v[106:107], v[100:101] op_sel:[1,0] op_sel_hi:[0,1]
	v_pk_add_f32 v[100:101], v[84:85], v[32:33] neg_lo:[0,1] neg_hi:[0,1]
	s_mov_b32 s12, 0x3e9e377a
	v_pk_mul_f32 v[84:85], v[100:101], s[10:11] op_sel_hi:[1,0]
	s_mov_b32 s13, s1
	v_pk_add_f32 v[110:111], v[84:85], v[110:111] op_sel:[1,0] op_sel_hi:[0,1]
	v_pk_add_f32 v[106:107], v[106:107], v[84:85] op_sel:[0,1] op_sel_hi:[1,0] neg_lo:[0,1] neg_hi:[0,1]
	v_pk_fma_f32 v[84:85], v[94:95], s[12:13], v[110:111] op_sel_hi:[1,0,1]
	v_pk_fma_f32 v[106:107], v[94:95], s[12:13], v[106:107] op_sel_hi:[1,0,1]
	v_mov_b32_e32 v94, v6
	v_mov_b32_e32 v95, v16
	v_pk_add_f32 v[110:111], v[58:59], v[56:57] neg_lo:[0,1] neg_hi:[0,1]
	v_pk_add_f32 v[112:113], v[60:61], v[94:95] neg_lo:[0,1] neg_hi:[0,1]
	;; [unrolled: 1-line block ×3, first 2 shown]
	v_pk_add_f32 v[110:111], v[110:111], v[112:113]
	v_pk_add_f32 v[112:113], v[56:57], v[94:95]
	v_pk_mul_f32 v[118:119], v[128:129], s[0:1] op_sel_hi:[1,0]
	v_pk_fma_f32 v[112:113], v[112:113], 0.5, v[64:65] op_sel_hi:[1,0,1] neg_lo:[1,0,0] neg_hi:[1,0,0]
	v_pk_add_f32 v[132:133], v[86:87], v[82:83] neg_lo:[0,1] neg_hi:[0,1]
	v_pk_add_f32 v[124:125], v[112:113], v[118:119] op_sel:[0,1] op_sel_hi:[1,0] neg_lo:[0,1] neg_hi:[0,1]
	v_pk_add_f32 v[112:113], v[118:119], v[112:113] op_sel:[1,0] op_sel_hi:[0,1]
	v_pk_add_f32 v[118:119], v[94:95], v[56:57] neg_lo:[0,1] neg_hi:[0,1]
	v_pk_mul_f32 v[138:139], v[132:133], s[0:1] op_sel_hi:[1,0]
	v_pk_mul_f32 v[94:95], v[118:119], s[10:11] op_sel_hi:[1,0]
	v_mov_b32_e32 v15, v48
	v_pk_add_f32 v[124:125], v[94:95], v[124:125] op_sel:[1,0] op_sel_hi:[0,1]
	v_pk_add_f32 v[112:113], v[112:113], v[94:95] op_sel:[0,1] op_sel_hi:[1,0] neg_lo:[0,1] neg_hi:[0,1]
	v_pk_fma_f32 v[94:95], v[110:111], s[12:13], v[124:125] op_sel_hi:[1,0,1]
	v_pk_fma_f32 v[124:125], v[110:111], s[12:13], v[112:113] op_sel_hi:[1,0,1]
	v_mov_b32_e32 v110, v22
	v_mov_b32_e32 v111, v48
	v_pk_add_f32 v[112:113], v[82:83], v[78:79] neg_lo:[0,1] neg_hi:[0,1]
	v_pk_add_f32 v[130:131], v[86:87], v[110:111] neg_lo:[0,1] neg_hi:[0,1]
	;; [unrolled: 1-line block ×3, first 2 shown]
	v_pk_add_f32 v[130:131], v[112:113], v[130:131]
	v_pk_add_f32 v[112:113], v[78:79], v[110:111]
	v_pk_add_f32 v[110:111], v[110:111], v[78:79] neg_lo:[0,1] neg_hi:[0,1]
	v_pk_fma_f32 v[112:113], v[112:113], 0.5, v[90:91] op_sel_hi:[1,0,1] neg_lo:[1,0,0] neg_hi:[1,0,0]
	v_mov_b32_e32 v25, v23
	v_pk_add_f32 v[140:141], v[112:113], v[138:139] op_sel:[0,1] op_sel_hi:[1,0] neg_lo:[0,1] neg_hi:[0,1]
	v_pk_add_f32 v[112:113], v[138:139], v[112:113] op_sel:[1,0] op_sel_hi:[0,1]
	v_pk_mul_f32 v[138:139], v[110:111], s[10:11] op_sel_hi:[1,0]
	v_pk_mul_f32 v[110:111], v[110:111], s[0:1] op_sel_hi:[1,0]
	v_pk_add_f32 v[140:141], v[138:139], v[140:141] op_sel:[1,0] op_sel_hi:[0,1]
	v_pk_add_f32 v[138:139], v[112:113], v[138:139] op_sel:[0,1] op_sel_hi:[1,0] neg_lo:[0,1] neg_hi:[0,1]
	v_pk_fma_f32 v[112:113], v[130:131], s[12:13], v[140:141] op_sel_hi:[1,0,1]
	v_pk_fma_f32 v[138:139], v[130:131], s[12:13], v[138:139] op_sel_hi:[1,0,1]
	v_pk_add_f32 v[130:131], v[14:15], v[86:87] neg_lo:[0,1] neg_hi:[0,1]
	v_pk_add_f32 v[140:141], v[78:79], v[82:83] neg_lo:[0,1] neg_hi:[0,1]
	v_mov_b32_e32 v130, v109
	v_mov_b32_e32 v140, v108
	v_pk_add_f32 v[108:109], v[140:141], v[130:131]
	v_pk_add_f32 v[130:131], v[82:83], v[86:87]
	v_mov_b32_e32 v103, v81
	v_pk_fma_f32 v[130:131], v[130:131], 0.5, v[90:91] op_sel_hi:[1,0,1] neg_lo:[1,0,0] neg_hi:[1,0,0]
	v_mov_b32_e32 v115, v73
	v_pk_add_f32 v[140:141], v[130:131], v[110:111] op_sel:[0,1] op_sel_hi:[1,0] neg_lo:[0,1] neg_hi:[0,1]
	v_pk_add_f32 v[110:111], v[110:111], v[130:131] op_sel:[1,0] op_sel_hi:[0,1]
	v_pk_mul_f32 v[130:131], v[132:133], s[10:11] op_sel_hi:[1,0]
	v_mov_b32_e32 v117, v128
	v_pk_add_f32 v[132:133], v[140:141], v[130:131] op_sel:[0,1] op_sel_hi:[1,0] neg_lo:[0,1] neg_hi:[0,1]
	v_pk_add_f32 v[110:111], v[130:131], v[110:111] op_sel:[1,0] op_sel_hi:[0,1]
	v_pk_mul_f32 v[140:141], v[108:109], s[12:13] op_sel_hi:[1,0]
	s_mov_b32 s10, s0
	v_add_f32_e32 v19, v141, v111
	v_mov_b32_e32 v111, v133
	v_pk_fma_f32 v[108:109], v[108:109], s[12:13], v[110:111] op_sel_hi:[1,0,1]
	v_mov_b32_e32 v110, v26
	v_mov_b32_e32 v111, v88
	v_pk_add_f32 v[110:111], v[110:111], v[24:25] neg_lo:[0,1] neg_hi:[0,1]
	s_mov_b32 s11, s12
	v_add_f32_e32 v15, v110, v111
	v_mul_f32_e32 v70, 0x3e9e377a, v15
	v_pk_mul_f32 v[110:111], v[102:103], s[12:13]
	v_pk_mul_f32 v[102:103], v[114:115], s[12:13]
	v_pk_mul_f32 v[130:131], v[116:117], s[12:13]
	v_mov_b32_e32 v121, v71
	v_mov_b32_e32 v123, v126
	;; [unrolled: 1-line block ×3, first 2 shown]
	v_pk_mul_f32 v[114:115], v[138:139], s[10:11]
	v_mov_b32_e32 v138, v113
	v_pk_add_f32 v[144:145], v[70:71], v[98:99] op_sel_hi:[0,1]
	v_pk_mul_f32 v[98:99], v[120:121], s[12:13]
	v_pk_mul_f32 v[120:121], v[122:123], s[12:13]
	v_mov_b32_e32 v117, v112
	s_mov_b32 s13, 0xbe9e377a
	v_pk_mul_f32 v[122:123], v[138:139], s[0:1] op_sel_hi:[1,0]
	v_mov_b32_e32 v70, v91
	v_pk_fma_f32 v[138:139], v[116:117], s[12:13], v[122:123] neg_lo:[0,0,1] neg_hi:[0,0,1]
	v_mov_b32_e32 v117, v132
	v_add_f32_e32 v116, v50, v49
	v_mov_b32_e32 v123, v140
	v_mov_b32_e32 v122, v89
	v_pk_add_f32 v[116:117], v[122:123], v[116:117]
	v_mov_b32_e32 v122, v91
	v_mov_b32_e32 v91, v88
	v_add_f32_e32 v15, v88, v67
	v_pk_add_f32 v[88:89], v[22:23], v[90:91]
	v_pk_add_f32 v[90:91], v[22:23], v[90:91] neg_lo:[0,1] neg_hi:[0,1]
	v_mov_b32_e32 v74, v87
	v_mov_b32_e32 v89, v91
	;; [unrolled: 1-line block ×3, first 2 shown]
	v_pk_add_f32 v[86:87], v[86:87], v[88:89]
	v_mov_b32_e32 v89, v127
	v_mov_b32_e32 v88, v101
	v_pk_add_f32 v[132:133], v[34:35], v[42:43]
	v_pk_mul_f32 v[126:127], v[88:89], s[0:1]
	v_fma_f32 v67, -0.5, v132, v44
	v_sub_f32_e32 v51, v67, v126
	v_mov_b32_e32 v91, v126
	v_mov_b32_e32 v126, 0x3e9e377a
	v_mov_b32_e32 v80, v83
	v_mov_b32_e32 v83, v126
	v_pk_add_f32 v[140:141], v[82:83], v[86:87]
	v_pk_mul_f32 v[82:83], v[82:83], v[86:87]
	v_pk_mul_f32 v[86:87], v[104:105], s[0:1]
	v_mov_b32_e32 v104, v79
	v_sub_f32_e32 v22, v47, v86
	v_sub_f32_e32 v22, v22, v87
	v_mov_b32_e32 v79, v22
	v_mov_b32_e32 v141, v83
	v_pk_add_f32 v[78:79], v[78:79], v[140:141]
	v_mul_f32_e32 v25, 0x3f167918, v19
	v_add_f32_e32 v140, v26, v15
	v_mul_f32_e32 v141, 0x3f4f1bbd, v117
	v_add_f32_e32 v22, v86, v47
	v_pk_add_f32 v[142:143], v[140:141], v[24:25]
	v_pk_add_f32 v[140:141], v[140:141], v[24:25] neg_lo:[0,1] neg_hi:[0,1]
	v_add_f32_e32 v22, v87, v22
	s_mov_b32 s14, 0xbf4f1bbd
	s_mov_b32 s15, s1
	v_mov_b32_e32 v140, v142
	v_add_f32_e32 v22, v83, v22
	v_pk_mul_f32 v[82:83], v[108:109], s[14:15]
	v_pk_add_f32 v[148:149], v[78:79], v[140:141]
	v_pk_add_f32 v[86:87], v[142:143], v[78:79] neg_lo:[0,1] neg_hi:[0,1]
	v_mov_b32_e32 v78, v79
	v_mov_b32_e32 v79, v144
	;; [unrolled: 1-line block ×5, first 2 shown]
	v_pk_add_f32 v[78:79], v[78:79], v[140:141] neg_lo:[0,1] neg_hi:[0,1]
	v_pk_fma_f32 v[140:141], v[108:109], s[14:15], v[26:27] neg_lo:[0,0,1] neg_hi:[0,0,1]
	v_mad_u32_u24 v15, v134, 40, 0
	v_pk_add_f32 v[82:83], v[22:23], v[140:141]
	v_add_f32_e32 v26, v10, v7
	v_mov_b32_e32 v83, v86
	ds_write2_b64 v15, v[82:83], v[78:79] offset0:2 offset1:3
	v_pk_add_f32 v[82:83], v[28:29], v[62:63]
	v_add_f32_e32 v25, v7, v66
	v_fma_f32 v101, -0.5, v82, v66
	v_fmac_f32_e32 v66, -0.5, v26
	v_pk_mul_f32 v[78:79], v[96:97], s[4:5]
	v_pk_add_f32 v[146:147], v[144:145], v[138:139]
	v_add_f32_e32 v26, v79, v66
	v_sub_f32_e32 v47, v66, v79
	v_sub_f32_e32 v142, v26, v78
	v_add_f32_e32 v143, v78, v47
	v_mov_b32_e32 v78, v56
	v_mov_b32_e32 v79, v6
	;; [unrolled: 1-line block ×4, first 2 shown]
	ds_write2_b64 v15, v[148:149], v[146:147] offset1:1
	v_pk_add_f32 v[78:79], v[78:79], v[86:87] neg_lo:[0,1] neg_hi:[0,1]
	v_mov_b32_e32 v86, v32
	v_mov_b32_e32 v87, v2
	;; [unrolled: 1-line block ×4, first 2 shown]
	v_pk_add_f32 v[86:87], v[86:87], v[146:147] neg_lo:[0,1] neg_hi:[0,1]
	v_mov_b32_e32 v128, v119
	v_mov_b32_e32 v90, v86
	;; [unrolled: 1-line block ×3, first 2 shown]
	v_pk_add_f32 v[66:67], v[90:91], v[66:67]
	v_pk_add_f32 v[90:91], v[58:59], v[60:61]
	v_pk_mul_f32 v[146:147], v[128:129], s[0:1]
	v_fma_f32 v87, -0.5, v90, v64
	v_mov_b32_e32 v86, v79
	v_mov_b32_e32 v79, v146
	v_pk_add_f32 v[148:149], v[78:79], v[86:87]
	v_pk_fma_f32 v[78:79], v[88:89], s[0:1], v[66:67]
	v_sub_f32_e32 v47, v51, v127
	v_mov_b32_e32 v26, v79
	v_pk_fma_f32 v[78:79], v[126:127], v[66:67], v[26:27]
	v_pk_mul_f32 v[66:67], v[126:127], v[66:67]
	v_mov_b32_e32 v127, v147
	v_sub_f32_e32 v72, v87, v146
	v_pk_mul_f32 v[88:89], v[126:127], v[148:149]
	v_sub_f32_e32 v87, v72, v147
	v_add_f32_e32 v86, v18, v17
	v_mov_b32_e32 v89, v88
	v_mov_b32_e32 v88, v63
	v_pk_add_f32 v[86:87], v[88:89], v[86:87]
	v_mov_b32_e32 v88, v145
	v_mov_b32_e32 v89, v22
	;; [unrolled: 1-line block ×4, first 2 shown]
	v_pk_add_f32 v[88:89], v[88:89], v[138:139] neg_lo:[0,1] neg_hi:[0,1]
	ds_write_b64 v15, v[88:89] offset:32
	v_mov_b32_e32 v88, v28
	v_mov_b32_e32 v89, v62
	v_pk_add_f32 v[138:139], v[10:11], v[28:29] neg_lo:[0,1] neg_hi:[0,1]
	v_mov_b32_e32 v11, v7
	v_pk_add_f32 v[88:89], v[88:89], v[10:11] neg_lo:[0,1] neg_hi:[0,1]
	v_fma_f32 v51, -0.5, v91, v65
	v_mov_b32_e32 v72, v65
	v_mov_b32_e32 v82, v65
	;; [unrolled: 1-line block ×3, first 2 shown]
	v_add_f32_e32 v11, v88, v89
	v_add_f32_e32 v25, v62, v25
	v_pk_add_f32 v[62:63], v[6:7], v[64:65]
	v_pk_add_f32 v[64:65], v[6:7], v[64:65] neg_lo:[0,1] neg_hi:[0,1]
	v_mul_f32_e32 v22, 0x3e9e377a, v11
	v_mov_b32_e32 v63, v65
	v_mov_b32_e32 v6, v61
	;; [unrolled: 1-line block ×3, first 2 shown]
	v_pk_add_f32 v[140:141], v[22:23], v[142:143] op_sel_hi:[0,1]
	v_pk_add_f32 v[60:61], v[60:61], v[62:63]
	v_mov_b32_e32 v22, v59
	v_mov_b32_e32 v59, v126
	v_pk_add_f32 v[62:63], v[58:59], v[60:61]
	v_pk_mul_f32 v[58:59], v[58:59], v[60:61]
	v_pk_mul_f32 v[60:61], v[96:97], s[0:1]
	v_mov_b32_e32 v26, v57
	v_sub_f32_e32 v11, v101, v60
	v_sub_f32_e32 v11, v11, v61
	v_mov_b32_e32 v57, v11
	v_fmamk_f32 v11, v118, 0x3f737871, v51
	v_add_f32_e32 v11, v131, v11
	v_mov_b32_e32 v63, v59
	v_add_f32_e32 v137, v130, v11
	v_pk_add_f32 v[56:57], v[56:57], v[62:63]
	v_mul_f32_e32 v11, 0x3f167918, v137
	v_add_f32_e32 v62, v28, v25
	v_mul_f32_e32 v63, 0x3f4f1bbd, v87
	v_pk_add_f32 v[64:65], v[62:63], v[10:11]
	v_pk_add_f32 v[62:63], v[62:63], v[10:11] neg_lo:[0,1] neg_hi:[0,1]
	v_add_f32_e32 v11, v60, v101
	v_mov_b32_e32 v142, v124
	v_pk_mul_f32 v[88:89], v[124:125], s[10:11]
	v_mov_b32_e32 v124, v95
	v_add_f32_e32 v11, v61, v11
	v_pk_fma_f32 v[60:61], v[128:129], s[0:1], v[148:149]
	v_mov_b32_e32 v143, v94
	v_pk_mul_f32 v[124:125], v[124:125], s[0:1] op_sel_hi:[1,0]
	v_mov_b32_e32 v28, v61
	v_fmac_f32_e32 v51, 0xbf737871, v118
	v_pk_fma_f32 v[142:143], v[142:143], s[12:13], v[124:125] neg_lo:[0,0,1] neg_hi:[0,0,1]
	v_pk_fma_f32 v[124:125], v[126:127], v[148:149], v[28:29]
	v_sub_f32_e32 v25, v51, v131
	v_mov_b32_e32 v65, v63
	v_add_f32_e32 v125, v130, v25
	v_pk_add_f32 v[96:97], v[56:57], v[64:65]
	v_mov_b32_e32 v60, v57
	v_mov_b32_e32 v57, v56
	v_mul_f32_e32 v56, 0xbf167918, v125
	v_add_f32_e32 v58, v59, v11
	v_mov_b32_e32 v59, v64
	v_mov_b32_e32 v61, v140
	;; [unrolled: 1-line block ×4, first 2 shown]
	v_fmac_f32_e32 v56, 0xbf4f1bbd, v124
	v_mad_i32_i24 v79, v135, 40, 0
	v_pk_add_f32 v[90:91], v[140:141], v[142:143]
	v_pk_add_f32 v[60:61], v[60:61], v[62:63] neg_lo:[0,1] neg_hi:[0,1]
	v_pk_add_f32 v[62:63], v[58:59], v[56:57]
	v_pk_add_f32 v[64:65], v[58:59], v[56:57] neg_lo:[0,1] neg_hi:[0,1]
	ds_write2_b64 v79, v[96:97], v[90:91] offset1:1
	v_mov_b32_e32 v63, v65
	v_pk_add_f32 v[96:97], v[30:31], v[52:53]
	v_add_f32_e32 v28, v4, v3
	ds_write2_b64 v79, v[62:63], v[60:61] offset0:2 offset1:3
	v_add_f32_e32 v11, v3, v46
	v_fma_f32 v25, -0.5, v96, v46
	v_fmac_f32_e32 v46, -0.5, v28
	v_pk_mul_f32 v[60:61], v[92:93], s[4:5]
	v_mov_b32_e32 v59, v56
	v_add_f32_e32 v28, v61, v46
	v_sub_f32_e32 v46, v46, v61
	v_sub_f32_e32 v62, v28, v60
	v_add_f32_e32 v63, v60, v46
	v_add_f32_e32 v46, v14, v9
	v_mov_b32_e32 v61, v66
	v_mov_b32_e32 v60, v53
	v_pk_add_f32 v[90:91], v[60:61], v[46:47]
	v_mov_b32_e32 v46, v141
	v_mov_b32_e32 v47, v58
	;; [unrolled: 1-line block ×3, first 2 shown]
	v_pk_add_f32 v[46:47], v[46:47], v[58:59] neg_lo:[0,1] neg_hi:[0,1]
	ds_write_b64 v79, v[46:47] offset:32
	v_mov_b32_e32 v46, v30
	v_mov_b32_e32 v47, v52
	v_pk_add_f32 v[56:57], v[4:5], v[30:31] neg_lo:[0,1] neg_hi:[0,1]
	v_mov_b32_e32 v5, v3
	v_mov_b32_e32 v58, v106
	v_pk_mul_f32 v[118:119], v[106:107], s[10:11]
	v_mov_b32_e32 v106, v85
	v_pk_add_f32 v[46:47], v[46:47], v[4:5] neg_lo:[0,1] neg_hi:[0,1]
	v_pk_mul_f32 v[60:61], v[106:107], s[0:1] op_sel_hi:[1,0]
	v_fma_f32 v51, -0.5, v133, v45
	v_mov_b32_e32 v106, v45
	v_mov_b32_e32 v96, v45
	;; [unrolled: 1-line block ×3, first 2 shown]
	v_add_f32_e32 v5, v46, v47
	v_add_f32_e32 v11, v52, v11
	v_pk_add_f32 v[52:53], v[2:3], v[44:45]
	v_pk_add_f32 v[44:45], v[2:3], v[44:45] neg_lo:[0,1] neg_hi:[0,1]
	v_mul_f32_e32 v28, 0x3e9e377a, v5
	v_mov_b32_e32 v53, v45
	v_mov_b32_e32 v2, v43
	;; [unrolled: 1-line block ×3, first 2 shown]
	v_pk_add_f32 v[46:47], v[28:29], v[62:63] op_sel_hi:[0,1]
	v_pk_add_f32 v[42:43], v[42:43], v[52:53]
	v_mov_b32_e32 v28, v35
	v_mov_b32_e32 v35, v126
	v_pk_add_f32 v[44:45], v[34:35], v[42:43]
	v_pk_mul_f32 v[34:35], v[34:35], v[42:43]
	v_pk_mul_f32 v[42:43], v[92:93], s[0:1]
	v_mov_b32_e32 v34, v33
	v_sub_f32_e32 v5, v25, v42
	v_sub_f32_e32 v5, v5, v43
	v_mov_b32_e32 v33, v5
	v_fmamk_f32 v5, v100, 0x3f737871, v51
	v_add_f32_e32 v5, v121, v5
	v_mov_b32_e32 v45, v35
	v_add_f32_e32 v144, v120, v5
	v_pk_add_f32 v[32:33], v[32:33], v[44:45]
	v_mul_f32_e32 v5, 0x3f167918, v144
	v_add_f32_e32 v44, v30, v11
	v_mul_f32_e32 v45, 0x3f4f1bbd, v91
	v_mov_b32_e32 v59, v84
	v_pk_add_f32 v[52:53], v[44:45], v[4:5]
	v_pk_add_f32 v[44:45], v[44:45], v[4:5] neg_lo:[0,1] neg_hi:[0,1]
	v_fmac_f32_e32 v51, 0xbf737871, v100
	v_pk_fma_f32 v[58:59], v[58:59], s[12:13], v[60:61] neg_lo:[0,0,1] neg_hi:[0,0,1]
	v_mov_b32_e32 v53, v45
	v_add_f32_e32 v5, v42, v25
	v_sub_f32_e32 v11, v51, v121
	v_pk_add_f32 v[60:61], v[32:33], v[52:53]
	v_add_f32_e32 v5, v43, v5
	v_add_f32_e32 v145, v120, v11
	v_mov_b32_e32 v43, v52
	v_mov_b32_e32 v52, v33
	v_mov_b32_e32 v53, v46
	v_mov_b32_e32 v44, v45
	v_mov_b32_e32 v45, v58
	v_pk_add_f32 v[44:45], v[52:53], v[44:45] neg_lo:[0,1] neg_hi:[0,1]
	v_mul_f32_e32 v52, 0xbf167918, v145
	v_mad_i32_i24 v92, v41, 40, 0
	v_pk_add_f32 v[56:57], v[46:47], v[58:59]
	v_add_f32_e32 v42, v35, v5
	v_mov_b32_e32 v53, v32
	v_fmac_f32_e32 v52, 0xbf4f1bbd, v78
	ds_write2_b64 v92, v[60:61], v[56:57] offset1:1
	v_pk_add_f32 v[32:33], v[42:43], v[52:53]
	v_pk_add_f32 v[56:57], v[42:43], v[52:53] neg_lo:[0,1] neg_hi:[0,1]
	v_mul_f32_e32 v123, 0.5, v75
	v_mov_b32_e32 v33, v57
	v_add_f32_e32 v5, v54, v50
	ds_write2_b64 v92, v[32:33], v[44:45] offset0:2 offset1:3
	v_pk_add_f32 v[44:45], v[48:49], v[70:71]
	v_pk_add_f32 v[120:121], v[48:49], v[122:123] neg_lo:[0,1] neg_hi:[0,1]
	v_mov_b32_e32 v48, v49
	v_mov_b32_e32 v49, v23
	;; [unrolled: 1-line block ×3, first 2 shown]
	v_mul_f32_e32 v24, 0.5, v5
	v_mov_b32_e32 v33, 0x3f167918
	v_pk_add_f32 v[24:25], v[48:49], v[24:25] neg_lo:[0,1] neg_hi:[0,1]
	v_mul_f32_e32 v50, 0x3f737871, v81
	v_pk_mul_f32 v[48:49], v[24:25], s[0:1]
	v_mov_b32_e32 v51, v33
	v_mov_b32_e32 v48, v49
	v_fmamk_f32 v49, v81, 0xbf737871, v24
	v_pk_add_f32 v[56:57], v[24:25], v[50:51]
	v_pk_fma_f32 v[50:51], v[24:25], v[50:51], v[48:49]
	v_pk_add_f32 v[48:49], v[56:57], v[48:49] neg_lo:[0,1] neg_hi:[0,1]
	v_mov_b32_e32 v32, v31
	v_mov_b32_e32 v49, v51
	v_pk_add_f32 v[50:51], v[76:77], v[54:55] neg_lo:[0,1] neg_hi:[0,1]
	v_mov_b32_e32 v45, v121
	v_mul_f32_e32 v75, 0x3f737871, v25
	v_pk_add_f32 v[30:31], v[32:33], v[90:91]
	v_mov_b32_e32 v32, v29
	v_add_f32_e32 v5, v50, v51
	v_pk_add_f32 v[44:45], v[74:75], v[44:45]
	v_mov_b32_e32 v81, v111
	v_pk_add_f32 v[126:127], v[32:33], v[86:87]
	v_mov_b32_e32 v32, v27
	v_mul_f32_e32 v24, 0x3e9e377a, v5
	v_pk_add_f32 v[44:45], v[80:81], v[44:45]
	v_mov_b32_e32 v105, v110
	v_pk_add_f32 v[122:123], v[24:25], v[48:49] op_sel_hi:[0,1]
	v_pk_add_f32 v[132:133], v[104:105], v[44:45]
	v_pk_add_f32 v[44:45], v[32:33], v[116:117]
	v_pk_mul_f32 v[48:49], v[116:117], s[0:1]
	v_mul_f32_e32 v55, 0x3f4f1bbd, v19
	v_mov_b32_e32 v45, v49
	v_fmac_f32_e32 v121, 0xbf737871, v25
	v_pk_fma_f32 v[128:129], v[112:113], s[10:11], v[114:115] op_sel:[0,0,1] op_sel_hi:[1,1,0]
	v_pk_fma_f32 v[130:131], v[112:113], s[10:11], v[114:115] op_sel:[0,0,1] op_sel_hi:[1,1,0] neg_lo:[0,0,1] neg_hi:[0,0,1]
	v_pk_add_f32 v[138:139], v[54:55], v[44:45]
	v_mov_b32_e32 v44, v47
	v_mov_b32_e32 v45, v42
	;; [unrolled: 1-line block ×4, first 2 shown]
	v_mul_f32_e32 v24, 0xbf4f1bbd, v109
	v_sub_f32_e32 v5, v121, v111
	v_pk_add_f32 v[42:43], v[44:45], v[42:43] neg_lo:[0,1] neg_hi:[0,1]
	v_mov_b32_e32 v131, v129
	v_fmac_f32_e32 v24, 0x3f167918, v108
	v_add_f32_e32 v108, v110, v5
	ds_write_b64 v92, v[42:43] offset:32
	v_pk_add_f32 v[42:43], v[122:123], v[130:131]
	s_movk_i32 s4, 0xffdc
	v_mov_b32_e32 v109, v138
	v_mov_b32_e32 v128, v139
	;; [unrolled: 1-line block ×7, first 2 shown]
	v_mad_i32_i24 v80, v134, s4, v15
	v_pk_add_f32 v[142:143], v[132:133], v[138:139]
	v_pk_add_f32 v[110:111], v[110:111], v[128:129] neg_lo:[0,1] neg_hi:[0,1]
	v_pk_add_f32 v[128:129], v[108:109], v[24:25]
	v_pk_add_f32 v[132:133], v[108:109], v[24:25] neg_lo:[0,1] neg_hi:[0,1]
	v_pk_add_f32 v[24:25], v[122:123], v[130:131] neg_lo:[0,1] neg_hi:[0,1]
	v_mul_f32_e32 v83, 0.5, v83
	v_add_f32_e32 v5, v20, v18
	v_mov_b32_e32 v140, v43
	v_mov_b32_e32 v141, v42
	s_load_dwordx2 s[2:3], s[2:3], 0x0
	s_waitcnt lgkmcnt(0)
	s_barrier
	v_lshl_add_u32 v75, v40, 2, 0
	v_mad_i32_i24 v76, v135, s4, v79
	v_mad_i32_i24 v77, v41, s4, v92
	v_add_u32_e32 v70, 0xa00, v80
	v_add_u32_e32 v117, 0xe00, v80
	;; [unrolled: 1-line block ×13, first 2 shown]
	ds_read_b32 v100, v80
	ds_read_b32 v120, v75
	;; [unrolled: 1-line block ×4, first 2 shown]
	ds_read2_b32 v[64:65], v70 offset0:80 offset1:200
	ds_read2_b32 v[62:63], v117 offset0:64 offset1:184
	;; [unrolled: 1-line block ×13, first 2 shown]
	s_waitcnt lgkmcnt(0)
	s_barrier
	ds_write_b64 v15, v[24:25] offset:32
	v_pk_add_f32 v[24:25], v[16:17], v[72:73]
	v_pk_add_f32 v[82:83], v[16:17], v[82:83] neg_lo:[0,1] neg_hi:[0,1]
	v_mov_b32_e32 v16, v17
	v_mov_b32_e32 v17, v7
	;; [unrolled: 1-line block ×3, first 2 shown]
	v_mul_f32_e32 v10, 0.5, v5
	v_pk_add_f32 v[10:11], v[16:17], v[10:11] neg_lo:[0,1] neg_hi:[0,1]
	v_mul_f32_e32 v18, 0x3f737871, v73
	v_pk_mul_f32 v[16:17], v[10:11], s[0:1]
	v_mov_b32_e32 v19, v33
	v_mov_b32_e32 v16, v17
	v_fmamk_f32 v17, v73, 0xbf737871, v10
	v_pk_add_f32 v[72:73], v[10:11], v[18:19]
	v_pk_fma_f32 v[18:19], v[10:11], v[18:19], v[16:17]
	v_pk_add_f32 v[16:17], v[72:73], v[16:17] neg_lo:[0,1] neg_hi:[0,1]
	v_mov_b32_e32 v25, v83
	v_mov_b32_e32 v17, v19
	v_pk_add_f32 v[18:19], v[68:69], v[20:21] neg_lo:[0,1] neg_hi:[0,1]
	v_mul_f32_e32 v7, 0x3f737871, v11
	v_add_f32_e32 v5, v18, v19
	v_pk_add_f32 v[6:7], v[6:7], v[24:25]
	v_mov_b32_e32 v23, v103
	v_mul_f32_e32 v10, 0x3e9e377a, v5
	v_pk_fma_f32 v[18:19], v[94:95], s[10:11], v[88:89] op_sel:[0,0,1] op_sel_hi:[1,1,0]
	v_pk_fma_f32 v[68:69], v[94:95], s[10:11], v[88:89] op_sel:[0,0,1] op_sel_hi:[1,1,0] neg_lo:[0,0,1] neg_hi:[0,0,1]
	v_pk_add_f32 v[6:7], v[22:23], v[6:7]
	v_pk_mul_f32 v[22:23], v[86:87], s[0:1]
	v_pk_add_f32 v[16:17], v[10:11], v[16:17] op_sel_hi:[0,1]
	v_mov_b32_e32 v27, v102
	v_mov_b32_e32 v127, v23
	v_mul_f32_e32 v21, 0x3f4f1bbd, v137
	v_mov_b32_e32 v69, v19
	v_pk_add_f32 v[6:7], v[26:27], v[6:7]
	v_pk_add_f32 v[20:21], v[20:21], v[126:127]
	;; [unrolled: 1-line block ×3, first 2 shown]
	v_fmac_f32_e32 v83, 0xbf737871, v11
	v_mov_b32_e32 v129, v133
	v_mov_b32_e32 v24, v23
	;; [unrolled: 1-line block ×3, first 2 shown]
	v_pk_add_f32 v[22:23], v[6:7], v[20:21]
	v_mul_f32_e32 v10, 0xbf4f1bbd, v125
	v_sub_f32_e32 v5, v83, v103
	ds_write2_b64 v15, v[142:143], v[140:141] offset1:1
	ds_write2_b64 v15, v[128:129], v[110:111] offset0:2 offset1:3
	ds_write2_b64 v79, v[22:23], v[24:25] offset1:1
	v_fmac_f32_e32 v10, 0x3f167918, v124
	v_add_f32_e32 v22, v102, v5
	v_mov_b32_e32 v23, v20
	v_mov_b32_e32 v18, v21
	;; [unrolled: 1-line block ×5, first 2 shown]
	v_pk_add_f32 v[6:7], v[6:7], v[18:19] neg_lo:[0,1] neg_hi:[0,1]
	v_pk_add_f32 v[18:19], v[22:23], v[10:11]
	v_pk_add_f32 v[20:21], v[22:23], v[10:11] neg_lo:[0,1] neg_hi:[0,1]
	v_mul_f32_e32 v97, 0.5, v97
	v_mov_b32_e32 v19, v21
	ds_write2_b64 v79, v[18:19], v[6:7] offset0:2 offset1:3
	v_pk_add_f32 v[6:7], v[8:9], v[106:107]
	v_pk_add_f32 v[18:19], v[8:9], v[96:97] neg_lo:[0,1] neg_hi:[0,1]
	v_mov_b32_e32 v8, v9
	v_mov_b32_e32 v9, v3
	v_add_f32_e32 v3, v12, v14
	v_mov_b32_e32 v5, v4
	v_mul_f32_e32 v4, 0.5, v3
	v_pk_add_f32 v[4:5], v[8:9], v[4:5] neg_lo:[0,1] neg_hi:[0,1]
	v_mul_f32_e32 v32, 0x3f737871, v71
	v_pk_mul_f32 v[14:15], v[4:5], s[0:1]
	v_fmamk_f32 v9, v71, 0xbf737871, v4
	v_mov_b32_e32 v8, v15
	v_pk_add_f32 v[14:15], v[4:5], v[32:33]
	v_pk_add_f32 v[0:1], v[0:1], v[12:13] neg_lo:[0,1] neg_hi:[0,1]
	v_pk_fma_f32 v[20:21], v[4:5], v[32:33], v[8:9]
	v_pk_add_f32 v[8:9], v[14:15], v[8:9] neg_lo:[0,1] neg_hi:[0,1]
	v_add_f32_e32 v0, v0, v1
	v_mov_b32_e32 v7, v19
	v_mul_f32_e32 v3, 0x3f737871, v5
	v_mov_b32_e32 v9, v21
	v_mul_f32_e32 v0, 0x3e9e377a, v0
	v_fmac_f32_e32 v19, 0xbf737871, v5
	v_pk_add_f32 v[2:3], v[2:3], v[6:7]
	v_mov_b32_e32 v29, v99
	v_pk_mul_f32 v[6:7], v[90:91], s[0:1]
	v_pk_add_f32 v[0:1], v[0:1], v[8:9] op_sel_hi:[0,1]
	v_pk_fma_f32 v[8:9], v[84:85], s[10:11], v[118:119] op_sel:[0,0,1] op_sel_hi:[1,1,0]
	v_pk_fma_f32 v[14:15], v[84:85], s[10:11], v[118:119] op_sel:[0,0,1] op_sel_hi:[1,1,0] neg_lo:[0,0,1] neg_hi:[0,0,1]
	v_mul_f32_e32 v4, 0xbf4f1bbd, v145
	v_pk_add_f32 v[2:3], v[28:29], v[2:3]
	v_mov_b32_e32 v35, v98
	v_mov_b32_e32 v31, v7
	v_mul_f32_e32 v13, 0x3f4f1bbd, v144
	v_sub_f32_e32 v5, v19, v99
	v_fmac_f32_e32 v4, 0x3f167918, v78
	v_pk_add_f32 v[2:3], v[34:35], v[2:3]
	v_pk_add_f32 v[6:7], v[12:13], v[30:31]
	v_add_f32_e32 v12, v98, v5
	v_mov_b32_e32 v15, v9
	v_mov_b32_e32 v17, v22
	v_pk_add_f32 v[18:19], v[0:1], v[14:15]
	v_mov_b32_e32 v69, v10
	v_pk_add_f32 v[10:11], v[2:3], v[6:7]
	v_mov_b32_e32 v5, v2
	v_mov_b32_e32 v2, v3
	;; [unrolled: 1-line block ×5, first 2 shown]
	v_pk_add_f32 v[16:17], v[16:17], v[68:69] neg_lo:[0,1] neg_hi:[0,1]
	v_pk_add_f32 v[0:1], v[0:1], v[14:15] neg_lo:[0,1] neg_hi:[0,1]
	s_movk_i32 s0, 0xcd
	ds_write_b64 v79, v[16:17] offset:32
	ds_write_b64 v92, v[0:1] offset:32
	v_mul_lo_u16_sdwa v0, v134, s0 dst_sel:DWORD dst_unused:UNUSED_PAD src0_sel:BYTE_0 src1_sel:DWORD
	v_mov_b32_e32 v16, v19
	v_mov_b32_e32 v17, v18
	;; [unrolled: 1-line block ×3, first 2 shown]
	v_lshrrev_b16_e32 v85, 11, v0
	ds_write2_b64 v92, v[10:11], v[16:17] offset1:1
	v_pk_add_f32 v[10:11], v[12:13], v[4:5]
	v_pk_add_f32 v[16:17], v[12:13], v[4:5] neg_lo:[0,1] neg_hi:[0,1]
	v_mul_lo_u16_e32 v0, 10, v85
	v_mul_lo_u16_sdwa v5, v135, s0 dst_sel:DWORD dst_unused:UNUSED_PAD src0_sel:BYTE_0 src1_sel:DWORD
	v_sub_u16_e32 v86, v134, v0
	v_mov_b32_e32 v4, 9
	v_lshrrev_b16_e32 v83, 11, v5
	v_mov_b32_e32 v8, v7
	v_mul_u32_u24_sdwa v0, v86, v4 dst_sel:DWORD dst_unused:UNUSED_PAD src0_sel:BYTE_0 src1_sel:DWORD
	v_mul_lo_u16_e32 v5, 10, v83
	v_pk_add_f32 v[2:3], v[2:3], v[8:9] neg_lo:[0,1] neg_hi:[0,1]
	v_mov_b32_e32 v11, v17
	v_lshlrev_b32_e32 v87, 3, v0
	v_sub_u16_e32 v84, v135, v5
	ds_write2_b64 v92, v[10:11], v[2:3] offset0:2 offset1:3
	s_waitcnt lgkmcnt(0)
	s_barrier
	global_load_dwordx4 v[0:3], v87, s[8:9]
	v_mul_u32_u24_sdwa v4, v84, v4 dst_sel:DWORD dst_unused:UNUSED_PAD src0_sel:BYTE_0 src1_sel:DWORD
	v_lshlrev_b32_e32 v88, 3, v4
	global_load_dwordx4 v[4:7], v88, s[8:9]
	s_mov_b32 s0, 0xcccd
	v_mul_u32_u24_sdwa v8, v41, s0 dst_sel:DWORD dst_unused:UNUSED_PAD src0_sel:WORD_0 src1_sel:DWORD
	v_lshrrev_b32_e32 v73, 19, v8
	v_mul_lo_u16_e32 v8, 10, v73
	v_sub_u16_e32 v82, v41, v8
	v_mul_u32_u24_e32 v8, 9, v82
	v_lshlrev_b32_e32 v89, 3, v8
	global_load_dwordx4 v[8:11], v89, s[8:9]
	global_load_dwordx4 v[12:15], v87, s[8:9] offset:16
	global_load_dwordx4 v[16:19], v88, s[8:9] offset:16
	;; [unrolled: 1-line block ×5, first 2 shown]
	ds_read2_b32 v[70:71], v70 offset0:80 offset1:200
	ds_read2_b32 v[68:69], v146 offset0:96 offset1:216
	ds_read_b32 v90, v75
	global_load_dwordx4 v[32:35], v89, s[8:9] offset:32
	ds_read_b32 v78, v76
	ds_read_b32 v72, v77
	;; [unrolled: 1-line block ×3, first 2 shown]
	global_load_dwordx4 v[96:99], v87, s[8:9] offset:48
	global_load_dwordx2 v[102:103], v87, s[8:9] offset:64
	ds_read2_b32 v[108:109], v117 offset0:64 offset1:184
	s_movk_i32 s0, 0x64
	v_cmp_gt_u32_e64 s[0:1], s0, v134
	s_mov_b32 s4, 0x3f5db3d7
	s_mov_b32 s5, 0.5
	s_movk_i32 s10, 0x1000
	s_waitcnt vmcnt(10) lgkmcnt(4)
	v_mul_f32_e32 v94, v90, v1
	v_mul_f32_e32 v1, v120, v1
	v_fmac_f32_e32 v94, v120, v0
	v_fma_f32 v90, v90, v0, -v1
	v_mul_f32_e32 v0, v64, v3
	v_mul_f32_e32 v106, v70, v3
	v_fma_f32 v95, v70, v2, -v0
	s_waitcnt vmcnt(9)
	v_mul_f32_e32 v0, v66, v5
	v_fmac_f32_e32 v106, v64, v2
	v_mul_f32_e32 v70, v68, v5
	v_fma_f32 v68, v68, v4, -v0
	global_load_dwordx4 v[0:3], v88, s[8:9] offset:48
	v_fmac_f32_e32 v70, v66, v4
	v_mul_f32_e32 v4, v65, v7
	v_mul_f32_e32 v87, v71, v7
	v_fma_f32 v71, v71, v6, -v4
	s_waitcnt vmcnt(9)
	v_mul_f32_e32 v4, v67, v9
	v_fmac_f32_e32 v87, v65, v6
	v_mul_f32_e32 v64, v69, v9
	v_fma_f32 v66, v69, v8, -v4
	global_load_dwordx4 v[4:7], v89, s[8:9] offset:48
	v_fmac_f32_e32 v64, v67, v8
	s_waitcnt lgkmcnt(0)
	v_mul_f32_e32 v67, v108, v11
	v_mul_f32_e32 v8, v62, v11
	v_fmac_f32_e32 v67, v62, v10
	v_fma_f32 v62, v108, v10, -v8
	ds_read2_b32 v[8:9], v116 offset0:32 offset1:152
	s_waitcnt vmcnt(9)
	v_mul_f32_e32 v65, v109, v13
	v_mul_f32_e32 v10, v63, v13
	v_fmac_f32_e32 v65, v63, v12
	v_fma_f32 v69, v109, v12, -v10
	s_waitcnt lgkmcnt(0)
	v_mul_f32_e32 v108, v8, v15
	v_mul_f32_e32 v12, v60, v15
	global_load_dwordx2 v[10:11], v88, s[8:9] offset:64
	v_fmac_f32_e32 v108, v60, v14
	v_fma_f32 v88, v8, v14, -v12
	global_load_dwordx2 v[14:15], v89, s[8:9] offset:64
	ds_read2_b32 v[12:13], v115 offset0:48 offset1:168
	s_waitcnt vmcnt(10)
	v_mul_f32_e32 v8, v61, v19
	v_fma_f32 v60, v9, v18, -v8
	v_mul_f32_e32 v8, v58, v17
	v_mul_f32_e32 v63, v9, v19
	s_waitcnt lgkmcnt(0)
	v_fma_f32 v19, v12, v16, -v8
	ds_read2_b32 v[8:9], v114 offset0:16 offset1:136
	v_fmac_f32_e32 v63, v61, v18
	v_mul_f32_e32 v18, v12, v17
	s_waitcnt vmcnt(9)
	v_mul_f32_e32 v61, v13, v21
	v_mul_f32_e32 v12, v59, v21
	v_fmac_f32_e32 v61, v59, v20
	v_fma_f32 v20, v13, v20, -v12
	v_mul_f32_e32 v12, v56, v23
	v_fmac_f32_e32 v18, v58, v16
	s_waitcnt lgkmcnt(0)
	v_fma_f32 v16, v8, v22, -v12
	ds_read2_b32 v[12:13], v113 offset0:112 offset1:232
	v_mul_f32_e32 v58, v8, v23
	s_waitcnt vmcnt(8)
	v_mul_f32_e32 v8, v57, v25
	v_fmac_f32_e32 v58, v56, v22
	v_mul_f32_e32 v21, v9, v25
	v_fma_f32 v22, v9, v24, -v8
	v_mul_f32_e32 v8, v54, v27
	v_fmac_f32_e32 v21, v57, v24
	s_waitcnt lgkmcnt(0)
	v_fma_f32 v57, v12, v26, -v8
	ds_read2_b32 v[8:9], v74 offset0:128 offset1:248
	v_mul_f32_e32 v23, v12, v27
	s_waitcnt vmcnt(7)
	v_mul_f32_e32 v12, v55, v31
	v_fma_f32 v56, v13, v30, -v12
	v_mul_f32_e32 v12, v52, v29
	v_mul_f32_e32 v59, v13, v31
	s_waitcnt lgkmcnt(0)
	v_fma_f32 v89, v8, v28, -v12
	ds_read2_b32 v[12:13], v112 offset0:96 offset1:216
	v_mul_f32_e32 v24, v8, v29
	s_waitcnt vmcnt(6)
	v_mul_f32_e32 v8, v53, v33
	v_fmac_f32_e32 v24, v52, v28
	v_fma_f32 v17, v9, v32, -v8
	s_waitcnt lgkmcnt(0)
	v_mul_f32_e32 v52, v12, v35
	v_mul_f32_e32 v8, v50, v35
	;; [unrolled: 1-line block ×3, first 2 shown]
	v_fmac_f32_e32 v52, v50, v34
	v_fma_f32 v50, v12, v34, -v8
	ds_read2_b32 v[8:9], v107 offset0:64 offset1:184
	s_waitcnt vmcnt(5)
	v_mul_f32_e32 v12, v51, v97
	v_mul_f32_e32 v27, v13, v97
	v_fma_f32 v28, v13, v96, -v12
	v_mul_f32_e32 v12, v48, v99
	v_fmac_f32_e32 v27, v51, v96
	s_waitcnt lgkmcnt(0)
	v_fma_f32 v96, v8, v98, -v12
	ds_read2_b32 v[12:13], v105 offset0:80 offset1:200
	v_mul_f32_e32 v29, v8, v99
	v_fmac_f32_e32 v29, v48, v98
	v_fmac_f32_e32 v23, v54, v26
	;; [unrolled: 1-line block ×3, first 2 shown]
	s_waitcnt vmcnt(3) lgkmcnt(0)
	v_mul_f32_e32 v8, v12, v1
	v_mul_f32_e32 v1, v46, v1
	v_fmac_f32_e32 v8, v46, v0
	v_fma_f32 v99, v12, v0, -v1
	ds_read2_b32 v[0:1], v104 offset0:48 offset1:168
	v_mul_f32_e32 v97, v9, v3
	v_mul_f32_e32 v3, v49, v3
	v_fmac_f32_e32 v97, v49, v2
	v_fma_f32 v98, v9, v2, -v3
	s_waitcnt vmcnt(2)
	v_mul_f32_e32 v2, v47, v5
	v_fma_f32 v51, v13, v4, -v2
	s_waitcnt lgkmcnt(0)
	v_mul_f32_e32 v104, v0, v7
	v_mul_f32_e32 v2, v44, v7
	v_fmac_f32_e32 v104, v44, v6
	v_fma_f32 v44, v0, v6, -v2
	ds_read2_b32 v[2:3], v101 offset0:32 offset1:152
	v_mul_f32_e32 v9, v13, v5
	v_fmac_f32_e32 v9, v47, v4
	v_mul_f32_e32 v4, v45, v103
	v_mul_f32_e32 v0, v1, v103
	v_fma_f32 v1, v1, v102, -v4
	v_fmac_f32_e32 v0, v45, v102
	s_waitcnt vmcnt(1) lgkmcnt(0)
	v_mul_f32_e32 v4, v2, v11
	v_mul_f32_e32 v5, v42, v11
	v_fmac_f32_e32 v4, v42, v10
	v_fma_f32 v42, v2, v10, -v5
	s_waitcnt vmcnt(0)
	v_mul_f32_e32 v2, v3, v15
	v_mul_f32_e32 v5, v43, v15
	v_fmac_f32_e32 v2, v43, v14
	v_fma_f32 v43, v3, v14, -v5
	v_sub_f32_e32 v3, v106, v108
	v_sub_f32_e32 v5, v29, v23
	v_add_f32_e32 v3, v3, v5
	v_sub_f32_e32 v5, v65, v21
	v_sub_f32_e32 v6, v0, v27
	v_add_f32_e32 v5, v5, v6
	v_sub_f32_e32 v6, v69, v22
	v_sub_f32_e32 v7, v1, v28
	v_mov_b32_e32 v26, 2
	v_add_f32_e32 v32, v22, v28
	v_add_f32_e32 v6, v6, v7
	v_mul_u32_u24_e32 v7, 0x190, v85
	v_lshlrev_b32_sdwa v10, v26, v86 dst_sel:DWORD dst_unused:UNUSED_PAD src0_sel:DWORD src1_sel:BYTE_0
	v_add_f32_e32 v15, v21, v27
	v_fma_f32 v86, -0.5, v32, v90
	v_sub_f32_e32 v32, v65, v0
	v_add3_u32 v45, 0, v7, v10
	v_add_f32_e32 v10, v108, v23
	v_fma_f32 v85, -0.5, v15, v94
	v_sub_f32_e32 v15, v69, v1
	v_fmamk_f32 v33, v32, 0x3f737871, v86
	v_sub_f32_e32 v34, v21, v27
	v_fmac_f32_e32 v59, v55, v30
	v_add_f32_e32 v7, v100, v106
	v_fma_f32 v10, -0.5, v10, v100
	v_sub_f32_e32 v11, v95, v96
	v_add_f32_e32 v14, v94, v65
	v_fmamk_f32 v30, v15, 0xbf737871, v85
	v_sub_f32_e32 v31, v22, v28
	v_fmac_f32_e32 v33, 0x3f167918, v34
	v_add_f32_e32 v7, v7, v108
	v_fmamk_f32 v12, v11, 0xbf737871, v10
	v_sub_f32_e32 v13, v88, v57
	v_add_f32_e32 v14, v14, v21
	v_fmac_f32_e32 v30, 0xbf167918, v31
	v_fmac_f32_e32 v33, 0x3e9e377a, v6
	v_add_f32_e32 v7, v7, v23
	v_fmac_f32_e32 v12, 0xbf167918, v13
	v_add_f32_e32 v14, v14, v27
	v_fmac_f32_e32 v30, 0x3e9e377a, v5
	v_mul_f32_e32 v35, 0xbf167918, v33
	v_add_f32_e32 v7, v7, v29
	v_fmac_f32_e32 v12, 0x3e9e377a, v3
	v_add_f32_e32 v14, v14, v0
	v_fmac_f32_e32 v35, 0x3f4f1bbd, v30
	v_add_f32_e32 v46, v7, v14
	v_add_f32_e32 v47, v12, v35
	s_barrier
	ds_write2_b32 v45, v46, v47 offset1:10
	v_add_f32_e32 v46, v106, v29
	v_fmac_f32_e32 v100, -0.5, v46
	v_sub_f32_e32 v46, v108, v106
	v_sub_f32_e32 v47, v23, v29
	v_add_f32_e32 v46, v46, v47
	v_fmamk_f32 v47, v13, 0x3f737871, v100
	v_fmac_f32_e32 v100, 0xbf737871, v13
	v_fmac_f32_e32 v47, 0xbf167918, v11
	;; [unrolled: 1-line block ×5, first 2 shown]
	v_add_f32_e32 v46, v65, v0
	v_fmac_f32_e32 v94, -0.5, v46
	v_sub_f32_e32 v21, v21, v65
	v_sub_f32_e32 v0, v27, v0
	v_fmamk_f32 v101, v31, 0x3f737871, v94
	v_fmac_f32_e32 v94, 0xbf737871, v31
	v_add_f32_e32 v0, v21, v0
	v_fmac_f32_e32 v101, 0xbf167918, v15
	v_fmac_f32_e32 v94, 0x3f167918, v15
	v_add_f32_e32 v21, v69, v1
	v_fmac_f32_e32 v101, 0x3e9e377a, v0
	v_fmac_f32_e32 v94, 0x3e9e377a, v0
	v_add_f32_e32 v0, v90, v69
	v_fmac_f32_e32 v90, -0.5, v21
	v_fmac_f32_e32 v86, 0xbf737871, v32
	v_sub_f32_e32 v21, v22, v69
	v_sub_f32_e32 v27, v28, v1
	v_fmamk_f32 v69, v34, 0xbf737871, v90
	v_fmac_f32_e32 v85, 0x3f737871, v15
	v_fmac_f32_e32 v86, 0xbf167918, v34
	v_add_f32_e32 v21, v21, v27
	v_fmac_f32_e32 v69, 0x3f167918, v32
	v_fmac_f32_e32 v90, 0x3f737871, v34
	;; [unrolled: 1-line block ×9, first 2 shown]
	v_mul_f32_e32 v5, 0xbf167918, v86
	v_fmac_f32_e32 v90, 0x3e9e377a, v21
	v_mul_f32_e32 v21, 0xbf737871, v69
	v_fmac_f32_e32 v10, 0x3e9e377a, v3
	v_fmac_f32_e32 v5, 0xbf4f1bbd, v85
	;; [unrolled: 1-line block ×3, first 2 shown]
	v_mul_f32_e32 v27, 0xbf737871, v90
	v_sub_f32_e32 v3, v7, v14
	v_add_f32_e32 v6, v10, v5
	v_fmac_f32_e32 v27, 0xbe9e377a, v94
	ds_write2_b32 v45, v6, v3 offset0:40 offset1:50
	v_sub_f32_e32 v3, v12, v35
	v_sub_f32_e32 v6, v47, v21
	ds_write2_b32 v45, v3, v6 offset0:60 offset1:70
	v_sub_f32_e32 v3, v100, v27
	v_sub_f32_e32 v5, v10, v5
	;; [unrolled: 3-line block ×3, first 2 shown]
	v_add_f32_e32 v3, v3, v5
	v_sub_f32_e32 v5, v18, v24
	v_sub_f32_e32 v6, v4, v8
	v_add_f32_e32 v48, v100, v27
	v_add_f32_e32 v5, v5, v6
	v_sub_f32_e32 v6, v19, v89
	v_sub_f32_e32 v7, v42, v99
	v_add_f32_e32 v27, v89, v99
	v_add_f32_e32 v6, v6, v7
	v_mul_u32_u24_e32 v7, 0x190, v83
	v_lshlrev_b32_sdwa v10, v26, v84 dst_sel:DWORD dst_unused:UNUSED_PAD src0_sel:DWORD src1_sel:BYTE_0
	v_add_f32_e32 v15, v24, v8
	v_fma_f32 v102, -0.5, v27, v68
	v_sub_f32_e32 v27, v18, v4
	v_add3_u32 v83, 0, v7, v10
	v_add_f32_e32 v10, v63, v59
	v_fma_f32 v84, -0.5, v15, v70
	v_sub_f32_e32 v15, v19, v42
	v_fmamk_f32 v103, v27, 0x3f737871, v102
	v_sub_f32_e32 v31, v24, v8
	v_add_f32_e32 v46, v47, v21
	v_add_f32_e32 v7, v93, v87
	v_fma_f32 v10, -0.5, v10, v93
	v_sub_f32_e32 v11, v71, v98
	v_add_f32_e32 v14, v70, v18
	v_fmamk_f32 v100, v15, 0xbf737871, v84
	v_sub_f32_e32 v21, v89, v99
	v_fmac_f32_e32 v103, 0x3f167918, v31
	v_add_f32_e32 v7, v7, v63
	v_fmamk_f32 v12, v11, 0xbf737871, v10
	v_sub_f32_e32 v13, v60, v56
	v_add_f32_e32 v14, v14, v24
	v_fmac_f32_e32 v100, 0xbf167918, v21
	v_fmac_f32_e32 v103, 0x3e9e377a, v6
	v_add_f32_e32 v7, v7, v59
	v_fmac_f32_e32 v12, 0xbf167918, v13
	v_add_f32_e32 v14, v14, v8
	v_fmac_f32_e32 v100, 0x3e9e377a, v5
	v_mul_f32_e32 v32, 0xbf167918, v103
	v_add_f32_e32 v7, v7, v97
	v_fmac_f32_e32 v12, 0x3e9e377a, v3
	v_add_f32_e32 v14, v14, v4
	v_fmac_f32_e32 v32, 0x3f4f1bbd, v100
	v_add_f32_e32 v34, v7, v14
	v_add_f32_e32 v35, v12, v32
	ds_write2_b32 v45, v46, v48 offset0:20 offset1:30
	ds_write2_b32 v83, v34, v35 offset1:10
	v_add_f32_e32 v34, v87, v97
	v_fmac_f32_e32 v93, -0.5, v34
	v_sub_f32_e32 v34, v63, v87
	v_sub_f32_e32 v35, v59, v97
	v_add_f32_e32 v34, v34, v35
	v_fmamk_f32 v35, v13, 0x3f737871, v93
	v_fmac_f32_e32 v93, 0xbf737871, v13
	v_fmac_f32_e32 v35, 0xbf167918, v11
	;; [unrolled: 1-line block ×5, first 2 shown]
	v_add_f32_e32 v34, v18, v4
	v_fmac_f32_e32 v70, -0.5, v34
	v_sub_f32_e32 v18, v24, v18
	v_sub_f32_e32 v4, v8, v4
	v_fmamk_f32 v105, v21, 0x3f737871, v70
	v_fmac_f32_e32 v70, 0xbf737871, v21
	v_add_f32_e32 v4, v18, v4
	v_fmac_f32_e32 v105, 0xbf167918, v15
	v_fmac_f32_e32 v70, 0x3f167918, v15
	v_fmac_f32_e32 v105, 0x3e9e377a, v4
	v_fmac_f32_e32 v70, 0x3e9e377a, v4
	v_add_f32_e32 v4, v19, v42
	v_add_f32_e32 v107, v68, v19
	v_fmac_f32_e32 v68, -0.5, v4
	v_fmac_f32_e32 v102, 0xbf737871, v27
	v_sub_f32_e32 v4, v89, v19
	v_sub_f32_e32 v8, v99, v42
	v_fmamk_f32 v109, v31, 0xbf737871, v68
	v_fmac_f32_e32 v84, 0x3f737871, v15
	v_fmac_f32_e32 v102, 0xbf167918, v31
	v_add_f32_e32 v4, v4, v8
	v_fmac_f32_e32 v109, 0x3f167918, v27
	v_fmac_f32_e32 v68, 0x3f737871, v31
	;; [unrolled: 1-line block ×9, first 2 shown]
	v_mul_f32_e32 v5, 0xbf167918, v102
	v_fmac_f32_e32 v68, 0x3e9e377a, v4
	v_mul_f32_e32 v4, 0xbf737871, v109
	v_fmac_f32_e32 v10, 0x3e9e377a, v3
	v_fmac_f32_e32 v5, 0xbf4f1bbd, v84
	v_fmac_f32_e32 v4, 0x3e9e377a, v105
	v_mul_f32_e32 v8, 0xbf737871, v68
	v_sub_f32_e32 v3, v7, v14
	v_add_f32_e32 v6, v10, v5
	v_fmac_f32_e32 v8, 0xbe9e377a, v70
	v_add_f32_e32 v18, v35, v4
	ds_write2_b32 v83, v6, v3 offset0:40 offset1:50
	v_sub_f32_e32 v3, v12, v32
	v_sub_f32_e32 v4, v35, v4
	ds_write2_b32 v83, v3, v4 offset0:60 offset1:70
	v_sub_f32_e32 v3, v93, v8
	v_sub_f32_e32 v4, v10, v5
	;; [unrolled: 3-line block ×3, first 2 shown]
	v_add_f32_e32 v3, v3, v4
	v_sub_f32_e32 v4, v61, v25
	v_sub_f32_e32 v5, v2, v9
	v_add_f32_e32 v4, v4, v5
	v_sub_f32_e32 v5, v20, v17
	v_sub_f32_e32 v6, v43, v51
	v_add_f32_e32 v15, v17, v51
	v_add_f32_e32 v19, v93, v8
	;; [unrolled: 1-line block ×3, first 2 shown]
	v_mul_u32_u24_e32 v6, 0x190, v73
	v_lshlrev_b32_e32 v7, 2, v82
	v_add_f32_e32 v13, v25, v9
	v_fma_f32 v111, -0.5, v15, v66
	v_sub_f32_e32 v15, v61, v2
	ds_write2_b32 v83, v18, v19 offset0:20 offset1:30
	v_add3_u32 v82, 0, v6, v7
	v_add_f32_e32 v7, v58, v52
	v_fma_f32 v93, -0.5, v13, v64
	v_sub_f32_e32 v13, v20, v43
	v_fmamk_f32 v112, v15, 0x3f737871, v111
	v_sub_f32_e32 v18, v25, v9
	v_add_f32_e32 v6, v81, v67
	v_fma_f32 v7, -0.5, v7, v81
	v_sub_f32_e32 v8, v62, v44
	v_add_f32_e32 v12, v64, v61
	v_fmamk_f32 v110, v13, 0xbf737871, v93
	v_sub_f32_e32 v14, v17, v51
	v_fmac_f32_e32 v112, 0x3f167918, v18
	v_add_f32_e32 v6, v6, v58
	v_fmamk_f32 v10, v8, 0xbf737871, v7
	v_sub_f32_e32 v11, v16, v50
	v_add_f32_e32 v12, v12, v25
	v_fmac_f32_e32 v110, 0xbf167918, v14
	v_fmac_f32_e32 v112, 0x3e9e377a, v5
	v_add_f32_e32 v6, v6, v52
	v_fmac_f32_e32 v10, 0xbf167918, v11
	v_add_f32_e32 v12, v12, v9
	v_fmac_f32_e32 v110, 0x3e9e377a, v4
	v_mul_f32_e32 v19, 0xbf167918, v112
	v_add_f32_e32 v6, v6, v104
	v_fmac_f32_e32 v10, 0x3e9e377a, v3
	v_add_f32_e32 v12, v12, v2
	v_fmac_f32_e32 v19, 0x3f4f1bbd, v110
	v_add_f32_e32 v21, v6, v12
	v_add_f32_e32 v24, v10, v19
	ds_write2_b32 v82, v21, v24 offset1:10
	v_add_f32_e32 v21, v67, v104
	v_fmac_f32_e32 v81, -0.5, v21
	v_sub_f32_e32 v21, v58, v67
	v_sub_f32_e32 v24, v52, v104
	v_add_f32_e32 v21, v21, v24
	v_fmamk_f32 v24, v11, 0x3f737871, v81
	v_fmac_f32_e32 v81, 0xbf737871, v11
	v_fmac_f32_e32 v24, 0xbf167918, v8
	;; [unrolled: 1-line block ×5, first 2 shown]
	v_add_f32_e32 v21, v61, v2
	v_fmac_f32_e32 v64, -0.5, v21
	v_sub_f32_e32 v21, v25, v61
	v_sub_f32_e32 v2, v9, v2
	v_fmamk_f32 v61, v14, 0x3f737871, v64
	v_fmac_f32_e32 v64, 0xbf737871, v14
	v_add_f32_e32 v2, v21, v2
	v_fmac_f32_e32 v61, 0xbf167918, v13
	v_fmac_f32_e32 v64, 0x3f167918, v13
	;; [unrolled: 1-line block ×4, first 2 shown]
	v_add_f32_e32 v2, v20, v43
	v_add_f32_e32 v113, v66, v20
	v_fmac_f32_e32 v66, -0.5, v2
	v_fmac_f32_e32 v111, 0xbf737871, v15
	v_sub_f32_e32 v2, v17, v20
	v_sub_f32_e32 v9, v51, v43
	v_fmamk_f32 v114, v18, 0xbf737871, v66
	v_fmac_f32_e32 v93, 0x3f737871, v13
	v_fmac_f32_e32 v111, 0xbf167918, v18
	v_add_f32_e32 v0, v0, v22
	v_add_f32_e32 v2, v2, v9
	v_fmac_f32_e32 v114, 0x3f167918, v15
	v_fmac_f32_e32 v66, 0x3f737871, v18
	;; [unrolled: 1-line block ×5, first 2 shown]
	v_add_f32_e32 v0, v0, v28
	v_fmac_f32_e32 v114, 0x3e9e377a, v2
	v_fmac_f32_e32 v66, 0xbf167918, v15
	;; [unrolled: 1-line block ×4, first 2 shown]
	v_mul_f32_e32 v4, 0xbf167918, v111
	v_add_f32_e32 v115, v0, v1
	v_add_f32_e32 v0, v91, v95
	v_fmac_f32_e32 v66, 0x3e9e377a, v2
	v_mul_f32_e32 v2, 0xbf737871, v114
	v_fmac_f32_e32 v7, 0x3e9e377a, v3
	v_fmac_f32_e32 v4, 0xbf4f1bbd, v93
	v_add_f32_e32 v0, v0, v88
	v_fmac_f32_e32 v2, 0x3e9e377a, v61
	v_mul_f32_e32 v9, 0xbf737871, v66
	v_sub_f32_e32 v3, v6, v12
	v_add_f32_e32 v5, v7, v4
	v_add_f32_e32 v0, v0, v57
	v_fmac_f32_e32 v9, 0xbe9e377a, v64
	v_add_f32_e32 v20, v24, v2
	ds_write2_b32 v82, v5, v3 offset0:40 offset1:50
	v_sub_f32_e32 v3, v10, v19
	v_sub_f32_e32 v2, v24, v2
	v_add_f32_e32 v116, v0, v96
	v_add_f32_e32 v0, v88, v57
	;; [unrolled: 1-line block ×3, first 2 shown]
	ds_write2_b32 v82, v3, v2 offset0:60 offset1:70
	v_sub_f32_e32 v2, v81, v9
	v_sub_f32_e32 v3, v7, v4
	;; [unrolled: 1-line block ×3, first 2 shown]
	v_fma_f32 v118, -0.5, v0, v91
	ds_write2_b32 v82, v2, v3 offset0:80 offset1:90
	v_sub_f32_e32 v106, v108, v23
	v_sub_f32_e32 v2, v95, v88
	;; [unrolled: 1-line block ×3, first 2 shown]
	v_fmamk_f32 v119, v81, 0x3f737871, v118
	v_add_f32_e32 v108, v2, v3
	v_mul_f32_e32 v117, 0x3f4f1bbd, v33
	v_fmac_f32_e32 v119, 0x3f167918, v106
	v_fmac_f32_e32 v117, 0x3f167918, v30
	;; [unrolled: 1-line block ×3, first 2 shown]
	v_add_f32_e32 v120, v116, v115
	v_add_f32_e32 v121, v119, v117
	ds_write2_b32 v82, v20, v21 offset0:20 offset1:30
	s_waitcnt lgkmcnt(0)
	s_barrier
	ds_read_b32 v33, v80
	v_add_u32_e32 v65, 0x800, v80
	v_add_u32_e32 v46, 0x1000, v80
	;; [unrolled: 1-line block ×11, first 2 shown]
	v_lshl_add_u32 v49, v136, 2, 0
	ds_read_b32 v29, v77
	ds_read_b32 v32, v76
	;; [unrolled: 1-line block ×4, first 2 shown]
	ds_read_b32 v34, v80 offset:13920
	ds_read2_b32 v[24:25], v65 offset0:88 offset1:208
	ds_read2_b32 v[14:15], v46 offset0:56 offset1:176
	;; [unrolled: 1-line block ×12, first 2 shown]
	s_waitcnt lgkmcnt(0)
	s_barrier
	ds_write2_b32 v45, v120, v121 offset1:10
	v_add_f32_e32 v120, v95, v96
	v_fmac_f32_e32 v91, -0.5, v120
	v_sub_f32_e32 v88, v88, v95
	v_sub_f32_e32 v57, v57, v96
	v_add_f32_e32 v57, v88, v57
	v_fmamk_f32 v88, v106, 0xbf737871, v91
	v_fmac_f32_e32 v91, 0x3f737871, v106
	v_fmac_f32_e32 v118, 0xbf737871, v81
	;; [unrolled: 1-line block ×5, first 2 shown]
	v_mul_f32_e32 v81, 0xbf4f1bbd, v86
	v_fmac_f32_e32 v88, 0x3e9e377a, v57
	v_fmac_f32_e32 v91, 0x3e9e377a, v57
	v_mul_f32_e32 v57, 0x3e9e377a, v69
	v_fmac_f32_e32 v118, 0x3e9e377a, v108
	v_fmac_f32_e32 v81, 0x3f167918, v85
	;; [unrolled: 1-line block ×3, first 2 shown]
	v_mul_f32_e32 v69, 0xbe9e377a, v90
	v_sub_f32_e32 v85, v116, v115
	v_add_f32_e32 v86, v118, v81
	v_fmac_f32_e32 v69, 0x3f737871, v94
	v_add_f32_e32 v90, v88, v57
	ds_write2_b32 v45, v86, v85 offset0:40 offset1:50
	v_sub_f32_e32 v85, v119, v117
	v_sub_f32_e32 v57, v88, v57
	v_add_f32_e32 v94, v91, v69
	ds_write2_b32 v45, v85, v57 offset0:60 offset1:70
	v_sub_f32_e32 v57, v91, v69
	v_sub_f32_e32 v69, v118, v81
	v_add_f32_e32 v81, v60, v56
	ds_write2_b32 v45, v90, v94 offset0:20 offset1:30
	ds_write2_b32 v45, v57, v69 offset0:80 offset1:90
	v_sub_f32_e32 v45, v87, v97
	v_fma_f32 v81, -0.5, v81, v78
	v_sub_f32_e32 v57, v63, v59
	v_sub_f32_e32 v59, v71, v60
	;; [unrolled: 1-line block ×3, first 2 shown]
	v_add_f32_e32 v69, v78, v71
	v_fmamk_f32 v85, v45, 0x3f737871, v81
	v_fmac_f32_e32 v81, 0xbf737871, v45
	v_add_f32_e32 v59, v59, v63
	v_add_f32_e32 v63, v107, v89
	;; [unrolled: 1-line block ×3, first 2 shown]
	v_fmac_f32_e32 v85, 0x3f167918, v57
	v_fmac_f32_e32 v81, 0xbf167918, v57
	v_add_f32_e32 v63, v63, v99
	v_add_f32_e32 v69, v69, v56
	v_fmac_f32_e32 v85, 0x3e9e377a, v59
	v_fmac_f32_e32 v81, 0x3e9e377a, v59
	v_add_f32_e32 v59, v71, v98
	v_add_f32_e32 v42, v63, v42
	;; [unrolled: 1-line block ×3, first 2 shown]
	v_fmac_f32_e32 v78, -0.5, v59
	v_sub_f32_e32 v59, v60, v71
	v_sub_f32_e32 v56, v56, v98
	v_add_f32_e32 v86, v69, v42
	v_add_f32_e32 v56, v59, v56
	v_fmamk_f32 v59, v57, 0xbf737871, v78
	v_fmac_f32_e32 v78, 0x3f737871, v57
	v_sub_f32_e32 v42, v69, v42
	v_sub_f32_e32 v52, v58, v52
	;; [unrolled: 1-line block ×4, first 2 shown]
	v_fmac_f32_e32 v59, 0x3f167918, v45
	v_fmac_f32_e32 v78, 0xbf167918, v45
	v_add_f32_e32 v58, v58, v69
	v_add_f32_e32 v69, v16, v50
	v_fmac_f32_e32 v59, 0x3e9e377a, v56
	v_fmac_f32_e32 v78, 0x3e9e377a, v56
	v_mul_f32_e32 v56, 0xbe9e377a, v68
	v_sub_f32_e32 v67, v67, v104
	v_fma_f32 v69, -0.5, v69, v72
	v_fmac_f32_e32 v56, 0x3f737871, v70
	v_fmamk_f32 v70, v67, 0x3f737871, v69
	v_fmac_f32_e32 v69, 0xbf737871, v67
	v_fmac_f32_e32 v70, 0x3f167918, v52
	;; [unrolled: 1-line block ×5, first 2 shown]
	v_add_f32_e32 v58, v72, v62
	v_add_f32_e32 v58, v58, v16
	;; [unrolled: 1-line block ×4, first 2 shown]
	v_fmac_f32_e32 v72, -0.5, v71
	v_sub_f32_e32 v16, v16, v62
	v_add_f32_e32 v58, v58, v44
	v_sub_f32_e32 v44, v50, v44
	v_add_f32_e32 v16, v16, v44
	v_fmamk_f32 v44, v52, 0xbf737871, v72
	v_fmac_f32_e32 v72, 0x3f737871, v52
	v_fmac_f32_e32 v44, 0x3f167918, v67
	v_fmac_f32_e32 v72, 0xbf167918, v67
	v_fmac_f32_e32 v44, 0x3e9e377a, v16
	v_fmac_f32_e32 v72, 0x3e9e377a, v16
	v_add_f32_e32 v16, v113, v17
	v_mul_f32_e32 v63, 0x3f4f1bbd, v103
	v_mul_f32_e32 v45, 0x3e9e377a, v109
	v_add_f32_e32 v16, v16, v51
	v_fmac_f32_e32 v63, 0x3f167918, v100
	v_fmac_f32_e32 v45, 0x3f737871, v105
	v_mul_f32_e32 v57, 0xbf4f1bbd, v102
	v_add_f32_e32 v16, v16, v43
	v_mul_f32_e32 v17, 0x3f4f1bbd, v112
	v_mul_f32_e32 v43, 0x3e9e377a, v114
	;; [unrolled: 1-line block ×4, first 2 shown]
	v_add_f32_e32 v87, v85, v63
	v_fmac_f32_e32 v57, 0x3f167918, v84
	v_sub_f32_e32 v60, v85, v63
	v_add_f32_e32 v63, v59, v45
	v_sub_f32_e32 v45, v59, v45
	v_add_f32_e32 v59, v78, v56
	v_fmac_f32_e32 v17, 0x3f167918, v110
	v_fmac_f32_e32 v43, 0x3f737871, v61
	;; [unrolled: 1-line block ×4, first 2 shown]
	v_add_f32_e32 v52, v58, v16
	v_sub_f32_e32 v16, v58, v16
	ds_write2_b32 v83, v86, v87 offset1:10
	v_sub_f32_e32 v56, v78, v56
	v_add_f32_e32 v68, v81, v57
	v_sub_f32_e32 v57, v81, v57
	v_add_f32_e32 v58, v70, v17
	;; [unrolled: 2-line block ×5, first 2 shown]
	v_sub_f32_e32 v51, v69, v51
	ds_write2_b32 v83, v63, v59 offset0:20 offset1:30
	ds_write2_b32 v83, v68, v42 offset0:40 offset1:50
	;; [unrolled: 1-line block ×4, first 2 shown]
	ds_write2_b32 v82, v52, v58 offset1:10
	ds_write2_b32 v82, v61, v44 offset0:20 offset1:30
	ds_write2_b32 v82, v62, v16 offset0:40 offset1:50
	;; [unrolled: 1-line block ×4, first 2 shown]
	v_add_u32_e32 v16, 0xffffff9c, v134
	v_cndmask_b32_e64 v58, v16, v134, s[0:1]
	v_mul_i32_i24_e32 v16, 5, v58
	v_mov_b32_e32 v17, 0
	v_lshl_add_u64 v[70:71], v[16:17], 3, s[8:9]
	v_mov_b32_e32 v16, 41
	v_mul_lo_u16_sdwa v16, v135, v16 dst_sel:DWORD dst_unused:UNUSED_PAD src0_sel:BYTE_0 src1_sel:DWORD
	v_lshrrev_b16_e32 v56, 12, v16
	v_mul_lo_u16_e32 v16, 0x64, v56
	v_sub_u16_e32 v57, v135, v16
	v_mov_b32_e32 v16, 5
	v_mul_u32_u24_sdwa v16, v57, v16 dst_sel:DWORD dst_unused:UNUSED_PAD src0_sel:BYTE_0 src1_sel:DWORD
	v_lshlrev_b32_e32 v64, 3, v16
	v_lshrrev_b16_e32 v16, 2, v41
	v_mul_u32_u24_e32 v16, 0x147b, v16
	s_waitcnt lgkmcnt(0)
	s_barrier
	global_load_dwordx4 v[60:63], v[70:71], off offset:720
	v_lshrrev_b32_e32 v52, 17, v16
	v_mul_lo_u16_e32 v16, 0x64, v52
	v_sub_u16_e32 v44, v41, v16
	v_mul_u32_u24_e32 v16, 5, v44
	global_load_dwordx4 v[66:69], v64, s[8:9] offset:720
	v_lshlrev_b32_e32 v72, 3, v16
	global_load_dwordx4 v[82:85], v72, s[8:9] offset:720
	v_lshrrev_b16_e32 v16, 2, v40
	v_mul_u32_u24_e32 v16, 0x147b, v16
	v_lshrrev_b32_e32 v59, 17, v16
	v_mul_lo_u16_e32 v16, 0x64, v59
	v_sub_u16_e32 v45, v40, v16
	v_mul_u32_u24_e32 v16, 5, v45
	v_lshlrev_b32_e32 v78, 3, v16
	global_load_dwordx4 v[86:89], v78, s[8:9] offset:720
	v_lshrrev_b16_e32 v16, 2, v136
	v_mul_u32_u24_e32 v16, 0x147b, v16
	v_lshrrev_b32_e32 v42, 17, v16
	v_mul_lo_u16_e32 v16, 0x64, v42
	v_sub_u16_e32 v43, v136, v16
	v_mul_u32_u24_e32 v16, 5, v43
	v_lshlrev_b32_e32 v81, 3, v16
	global_load_dwordx4 v[94:97], v81, s[8:9] offset:720
	global_load_dwordx4 v[98:101], v[70:71], off offset:736
	global_load_dwordx4 v[102:105], v64, s[8:9] offset:736
	global_load_dwordx4 v[106:109], v72, s[8:9] offset:736
	ds_read2_b32 v[90:91], v65 offset0:88 offset1:208
	global_load_dwordx4 v[110:113], v78, s[8:9] offset:736
	ds_read2_b32 v[118:119], v46 offset0:56 offset1:176
	;; [unrolled: 2-line block ×3, first 2 shown]
	global_load_dwordx2 v[122:123], v[70:71], off offset:752
	ds_read2_b32 v[124:125], v48 offset0:72 offset1:192
	global_load_dwordx2 v[126:127], v72, s[8:9] offset:752
	s_movk_i32 s0, 0x63
	v_cmp_lt_u32_e64 s[0:1], s0, v134
	v_lshlrev_b32_e32 v58, 2, v58
	s_waitcnt vmcnt(11) lgkmcnt(3)
	v_mul_f32_e32 v16, v90, v61
	v_fmac_f32_e32 v16, v24, v60
	v_mul_f32_e32 v24, v24, v61
	v_fma_f32 v50, v90, v60, -v24
	s_waitcnt lgkmcnt(2)
	v_mul_f32_e32 v24, v119, v63
	v_fmac_f32_e32 v24, v15, v62
	v_mul_f32_e32 v15, v15, v63
	v_fma_f32 v60, v119, v62, -v15
	s_waitcnt vmcnt(10)
	v_mul_f32_e32 v15, v25, v67
	v_mul_f32_e32 v51, v91, v67
	v_fma_f32 v62, v91, v66, -v15
	global_load_dwordx2 v[90:91], v64, s[8:9] offset:752
	s_waitcnt lgkmcnt(1)
	v_mul_f32_e32 v67, v120, v69
	v_fmac_f32_e32 v67, v22, v68
	v_mul_f32_e32 v15, v22, v69
	s_waitcnt vmcnt(10)
	v_mul_f32_e32 v22, v23, v85
	s_waitcnt lgkmcnt(0)
	v_mul_f32_e32 v63, v124, v83
	v_fma_f32 v69, v120, v68, -v15
	v_mul_f32_e32 v15, v121, v85
	v_fma_f32 v70, v121, v84, -v22
	v_fmac_f32_e32 v63, v20, v82
	global_load_dwordx2 v[120:121], v78, s[8:9] offset:752
	v_mul_f32_e32 v20, v20, v83
	v_fma_f32 v71, v124, v82, -v20
	s_waitcnt vmcnt(10)
	v_mul_f32_e32 v22, v125, v87
	v_mul_f32_e32 v20, v21, v87
	v_fmac_f32_e32 v15, v23, v84
	v_fmac_f32_e32 v22, v21, v86
	v_fma_f32 v23, v125, v86, -v20
	global_load_dwordx2 v[20:21], v81, s[8:9] offset:752
	ds_read2_b32 v[82:83], v31 offset0:24 offset1:144
	v_fmac_f32_e32 v51, v25, v66
	ds_read2_b32 v[84:85], v74 offset0:8 offset1:128
	ds_read2_b32 v[86:87], v47 offset0:104 offset1:224
	s_waitcnt lgkmcnt(2)
	v_mul_f32_e32 v68, v82, v89
	s_waitcnt vmcnt(10)
	v_mul_f32_e32 v66, v83, v97
	v_fmac_f32_e32 v68, v18, v88
	v_mul_f32_e32 v18, v18, v89
	v_fmac_f32_e32 v66, v19, v96
	v_mul_f32_e32 v19, v19, v97
	v_fma_f32 v72, v82, v88, -v18
	v_fma_f32 v19, v83, v96, -v19
	ds_read2_b32 v[82:83], v54 offset0:88 offset1:208
	ds_read2_b32 v[88:89], v35 offset0:120 offset1:240
	s_waitcnt vmcnt(9) lgkmcnt(3)
	v_mul_f32_e32 v25, v84, v99
	v_fmac_f32_e32 v25, v12, v98
	v_mul_f32_e32 v12, v12, v99
	v_mul_f32_e32 v18, v118, v95
	v_fma_f32 v61, v84, v98, -v12
	s_waitcnt vmcnt(8)
	v_mul_f32_e32 v64, v85, v103
	s_waitcnt lgkmcnt(1)
	v_mul_f32_e32 v84, v82, v105
	v_fmac_f32_e32 v18, v14, v94
	v_mul_f32_e32 v14, v14, v95
	v_fmac_f32_e32 v64, v13, v102
	;; [unrolled: 2-line block ×3, first 2 shown]
	v_mul_f32_e32 v10, v10, v105
	v_fma_f32 v14, v118, v94, -v14
	v_fma_f32 v93, v85, v102, -v13
	;; [unrolled: 1-line block ×3, first 2 shown]
	s_waitcnt vmcnt(7)
	v_mul_f32_e32 v82, v83, v109
	v_mul_f32_e32 v10, v11, v109
	s_waitcnt lgkmcnt(0)
	v_mul_f32_e32 v94, v88, v107
	v_fmac_f32_e32 v82, v11, v108
	v_fma_f32 v83, v83, v108, -v10
	v_fmac_f32_e32 v94, v8, v106
	v_mul_f32_e32 v8, v8, v107
	ds_read2_b32 v[10:11], v30 offset0:72 offset1:192
	v_fma_f32 v95, v88, v106, -v8
	s_waitcnt vmcnt(6)
	v_mul_f32_e32 v96, v89, v111
	v_mul_f32_e32 v8, v9, v111
	v_fmac_f32_e32 v96, v9, v110
	v_fma_f32 v89, v89, v110, -v8
	ds_read2_b32 v[8:9], v73 offset0:56 offset1:176
	s_waitcnt lgkmcnt(1)
	v_mul_f32_e32 v78, v10, v113
	s_waitcnt vmcnt(5)
	v_mul_f32_e32 v13, v11, v117
	v_fmac_f32_e32 v78, v6, v112
	v_mul_f32_e32 v6, v6, v113
	v_fmac_f32_e32 v13, v7, v116
	v_mul_f32_e32 v7, v7, v117
	v_fma_f32 v81, v10, v112, -v6
	v_fma_f32 v7, v11, v116, -v7
	s_waitcnt vmcnt(4) lgkmcnt(0)
	v_mul_f32_e32 v97, v8, v123
	ds_read2_b32 v[10:11], v55 offset0:40 offset1:160
	v_fmac_f32_e32 v97, v2, v122
	v_mul_f32_e32 v2, v2, v123
	v_fma_f32 v2, v8, v122, -v2
	v_mul_f32_e32 v12, v87, v101
	v_fmac_f32_e32 v12, v5, v100
	v_mul_f32_e32 v5, v5, v101
	s_waitcnt vmcnt(2)
	v_mul_f32_e32 v8, v9, v91
	v_fmac_f32_e32 v8, v3, v90
	v_mul_f32_e32 v3, v3, v91
	v_fma_f32 v88, v9, v90, -v3
	ds_read_b32 v9, v80 offset:13920
	s_waitcnt lgkmcnt(1)
	v_mul_f32_e32 v3, v10, v127
	v_fmac_f32_e32 v3, v0, v126
	v_mul_f32_e32 v0, v0, v127
	v_fma_f32 v5, v87, v100, -v5
	v_fma_f32 v87, v10, v126, -v0
	s_waitcnt vmcnt(1)
	v_mul_f32_e32 v0, v11, v121
	v_fmac_f32_e32 v0, v1, v120
	v_mul_f32_e32 v1, v1, v121
	v_fma_f32 v1, v11, v120, -v1
	v_sub_f32_e32 v101, v60, v5
	v_mul_f32_e32 v6, v86, v115
	v_fmac_f32_e32 v6, v4, v114
	v_mul_f32_e32 v4, v4, v115
	s_waitcnt vmcnt(0) lgkmcnt(0)
	v_mul_f32_e32 v10, v9, v21
	v_mul_f32_e32 v11, v34, v21
	v_fmac_f32_e32 v10, v34, v20
	v_fma_f32 v20, v9, v20, -v11
	v_add_f32_e32 v11, v24, v12
	v_add_f32_e32 v21, v25, v97
	v_add_f32_e32 v34, v61, v2
	v_add_f32_e32 v9, v33, v24
	v_fmac_f32_e32 v33, -0.5, v11
	v_add_f32_e32 v11, v16, v25
	v_fmac_f32_e32 v16, -0.5, v21
	v_add_f32_e32 v21, v50, v61
	v_fmac_f32_e32 v50, -0.5, v34
	v_mov_b32_e32 v34, 0x960
	v_sub_f32_e32 v25, v25, v97
	v_cndmask_b32_e64 v34, 0, v34, s[0:1]
	v_add_f32_e32 v11, v11, v97
	v_add3_u32 v97, 0, v34, v58
	v_add_f32_e32 v9, v9, v12
	v_sub_f32_e32 v34, v61, v2
	v_fmamk_f32 v61, v25, 0x3f5db3d7, v50
	v_fmac_f32_e32 v50, 0xbf5db3d7, v25
	v_fmamk_f32 v58, v34, 0xbf5db3d7, v16
	v_add_f32_e32 v103, v9, v11
	v_fmac_f32_e32 v16, 0x3f5db3d7, v34
	v_sub_f32_e32 v9, v9, v11
	v_mul_f32_e32 v11, 0xbf5db3d7, v50
	v_mul_f32_e32 v100, 0xbf5db3d7, v61
	v_fmamk_f32 v102, v101, 0xbf5db3d7, v33
	v_fmac_f32_e32 v33, 0x3f5db3d7, v101
	v_fmac_f32_e32 v11, -0.5, v16
	v_fmac_f32_e32 v100, 0.5, v58
	v_add_f32_e32 v25, v33, v11
	v_add_u32_e32 v101, 0x200, v97
	v_fma_f32 v4, v86, v114, -v4
	ds_read_b32 v86, v77
	ds_read_b32 v90, v76
	;; [unrolled: 1-line block ×5, first 2 shown]
	s_waitcnt lgkmcnt(0)
	s_barrier
	ds_write2_b32 v101, v25, v9 offset0:72 offset1:172
	v_sub_f32_e32 v9, v102, v100
	v_sub_f32_e32 v11, v33, v11
	v_add_u32_e32 v33, 0x400, v97
	ds_write2_b32 v33, v9, v11 offset0:144 offset1:244
	v_add_f32_e32 v11, v67, v84
	v_add_f32_e32 v25, v64, v8
	;; [unrolled: 1-line block ×3, first 2 shown]
	v_fmac_f32_e32 v32, -0.5, v11
	v_add_f32_e32 v11, v51, v64
	v_fmac_f32_e32 v51, -0.5, v25
	v_add_f32_e32 v25, v93, v88
	v_add_f32_e32 v104, v102, v100
	;; [unrolled: 1-line block ×3, first 2 shown]
	v_fmac_f32_e32 v62, -0.5, v25
	v_add_f32_e32 v11, v11, v8
	v_sub_f32_e32 v8, v64, v8
	v_lshlrev_b32_sdwa v25, v26, v57 dst_sel:DWORD dst_unused:UNUSED_PAD src0_sel:DWORD src1_sel:BYTE_0
	v_mul_u32_u24_e32 v26, 0x960, v56
	ds_write2_b32 v97, v103, v104 offset1:100
	v_add3_u32 v102, 0, v26, v25
	v_add_f32_e32 v9, v9, v84
	v_sub_f32_e32 v25, v93, v88
	v_fmamk_f32 v103, v8, 0x3f5db3d7, v62
	v_fmac_f32_e32 v62, 0xbf5db3d7, v8
	v_fmamk_f32 v93, v25, 0xbf5db3d7, v51
	v_sub_f32_e32 v34, v69, v85
	v_add_f32_e32 v57, v9, v11
	v_fmac_f32_e32 v51, 0x3f5db3d7, v25
	v_sub_f32_e32 v8, v9, v11
	v_mul_f32_e32 v9, 0xbf5db3d7, v62
	v_mul_f32_e32 v26, 0xbf5db3d7, v103
	v_fmamk_f32 v56, v34, 0xbf5db3d7, v32
	v_fmac_f32_e32 v32, 0x3f5db3d7, v34
	v_fmac_f32_e32 v9, -0.5, v51
	v_fmac_f32_e32 v26, 0.5, v93
	v_add_f32_e32 v11, v32, v9
	v_add_u32_e32 v104, 0x200, v102
	ds_write2_b32 v104, v11, v8 offset0:72 offset1:172
	v_sub_f32_e32 v8, v56, v26
	v_sub_f32_e32 v9, v32, v9
	v_add_u32_e32 v32, 0x400, v102
	ds_write2_b32 v32, v8, v9 offset0:144 offset1:244
	v_add_f32_e32 v9, v15, v82
	v_add_f32_e32 v11, v94, v3
	;; [unrolled: 1-line block ×3, first 2 shown]
	v_fmac_f32_e32 v29, -0.5, v9
	v_add_f32_e32 v9, v63, v94
	v_fmac_f32_e32 v63, -0.5, v11
	v_add_f32_e32 v11, v95, v87
	s_mov_b32 s0, 0x5040100
	v_add_f32_e32 v105, v71, v95
	v_fmac_f32_e32 v71, -0.5, v11
	v_perm_b32 v11, v52, v59, s0
	s_movk_i32 s0, 0x960
	v_pk_mul_lo_u16 v11, v11, s0 op_sel_hi:[1,0]
	v_add_f32_e32 v64, v56, v26
	v_add_f32_e32 v9, v9, v3
	v_sub_f32_e32 v3, v94, v3
	v_lshlrev_b32_e32 v25, 2, v44
	v_lshrrev_b32_e32 v26, 16, v11
	v_add3_u32 v94, 0, v26, v25
	v_add_f32_e32 v8, v8, v82
	v_sub_f32_e32 v25, v95, v87
	v_fmamk_f32 v106, v3, 0x3f5db3d7, v71
	v_fmac_f32_e32 v71, 0xbf5db3d7, v3
	v_fmamk_f32 v95, v25, 0xbf5db3d7, v63
	v_sub_f32_e32 v34, v70, v83
	v_add_f32_e32 v52, v8, v9
	v_fmac_f32_e32 v63, 0x3f5db3d7, v25
	v_sub_f32_e32 v3, v8, v9
	v_mul_f32_e32 v8, 0xbf5db3d7, v71
	v_mul_f32_e32 v26, 0xbf5db3d7, v106
	v_fmamk_f32 v44, v34, 0xbf5db3d7, v29
	v_fmac_f32_e32 v29, 0x3f5db3d7, v34
	v_fmac_f32_e32 v8, -0.5, v63
	v_fmac_f32_e32 v26, 0.5, v95
	v_add_f32_e32 v9, v29, v8
	v_add_u32_e32 v107, 0x200, v94
	ds_write2_b32 v102, v57, v64 offset1:100
	ds_write2_b32 v107, v9, v3 offset0:72 offset1:172
	v_sub_f32_e32 v3, v44, v26
	v_sub_f32_e32 v8, v29, v8
	v_add_u32_e32 v108, 0x400, v94
	ds_write2_b32 v108, v3, v8 offset0:144 offset1:244
	v_add_f32_e32 v8, v68, v78
	v_add_f32_e32 v9, v96, v0
	v_add_f32_e32 v3, v28, v68
	v_fmac_f32_e32 v28, -0.5, v8
	v_add_f32_e32 v8, v22, v96
	v_fmac_f32_e32 v22, -0.5, v9
	v_add_f32_e32 v9, v89, v1
	v_add_f32_e32 v109, v23, v89
	v_fmac_f32_e32 v23, -0.5, v9
	v_add_f32_e32 v8, v8, v0
	v_sub_f32_e32 v0, v96, v0
	v_and_b32_e32 v9, 0xffe0, v11
	v_lshlrev_b32_e32 v11, 2, v45
	v_add3_u32 v96, 0, v9, v11
	v_add_f32_e32 v3, v3, v78
	v_sub_f32_e32 v9, v89, v1
	v_fmamk_f32 v110, v0, 0x3f5db3d7, v23
	v_fmac_f32_e32 v23, 0xbf5db3d7, v0
	v_fmamk_f32 v89, v9, 0xbf5db3d7, v22
	v_sub_f32_e32 v25, v72, v81
	v_add_f32_e32 v29, v3, v8
	v_fmac_f32_e32 v22, 0x3f5db3d7, v9
	v_sub_f32_e32 v0, v3, v8
	v_mul_f32_e32 v3, 0xbf5db3d7, v23
	v_add_f32_e32 v56, v44, v26
	v_mul_f32_e32 v11, 0xbf5db3d7, v110
	v_fmamk_f32 v26, v25, 0xbf5db3d7, v28
	v_fmac_f32_e32 v28, 0x3f5db3d7, v25
	v_fmac_f32_e32 v3, -0.5, v22
	v_fmac_f32_e32 v11, 0.5, v89
	v_add_f32_e32 v8, v28, v3
	v_add_u32_e32 v111, 0x200, v96
	ds_write2_b32 v94, v52, v56 offset1:100
	ds_write2_b32 v111, v8, v0 offset0:72 offset1:172
	v_sub_f32_e32 v0, v26, v11
	v_sub_f32_e32 v3, v28, v3
	v_add_u32_e32 v112, 0x400, v96
	ds_write2_b32 v112, v0, v3 offset0:144 offset1:244
	v_add_f32_e32 v3, v66, v13
	v_add_f32_e32 v8, v6, v10
	;; [unrolled: 1-line block ×3, first 2 shown]
	v_fmac_f32_e32 v27, -0.5, v3
	v_add_f32_e32 v3, v18, v6
	v_fmac_f32_e32 v18, -0.5, v8
	v_add_f32_e32 v8, v4, v20
	v_add_f32_e32 v113, v14, v4
	v_fmac_f32_e32 v14, -0.5, v8
	v_sub_f32_e32 v6, v6, v10
	v_add_f32_e32 v3, v3, v10
	v_mul_u32_u24_e32 v8, 0x960, v42
	v_lshlrev_b32_e32 v9, 2, v43
	v_add_f32_e32 v0, v0, v13
	v_sub_f32_e32 v4, v4, v20
	v_fmamk_f32 v116, v6, 0x3f5db3d7, v14
	v_fmac_f32_e32 v14, 0xbf5db3d7, v6
	v_add_f32_e32 v34, v26, v11
	v_add3_u32 v114, 0, v8, v9
	v_fmamk_f32 v115, v4, 0xbf5db3d7, v18
	v_sub_f32_e32 v9, v19, v7
	v_add_f32_e32 v11, v0, v3
	v_fmac_f32_e32 v18, 0x3f5db3d7, v4
	v_sub_f32_e32 v0, v0, v3
	v_mul_f32_e32 v3, 0xbf5db3d7, v14
	v_mul_f32_e32 v8, 0xbf5db3d7, v116
	v_fmamk_f32 v10, v9, 0xbf5db3d7, v27
	v_fmac_f32_e32 v27, 0x3f5db3d7, v9
	v_fmac_f32_e32 v3, -0.5, v18
	v_fmac_f32_e32 v8, 0.5, v115
	v_add_f32_e32 v4, v27, v3
	v_add_u32_e32 v117, 0x200, v114
	ds_write2_b32 v96, v29, v34 offset1:100
	ds_write2_b32 v117, v4, v0 offset0:72 offset1:172
	v_sub_f32_e32 v0, v10, v8
	v_sub_f32_e32 v3, v27, v3
	v_add_u32_e32 v118, 0x400, v114
	ds_write2_b32 v118, v0, v3 offset0:144 offset1:244
	v_add_f32_e32 v0, v99, v60
	v_add_f32_e32 v119, v0, v5
	;; [unrolled: 1-line block ×4, first 2 shown]
	v_fmac_f32_e32 v99, -0.5, v0
	v_sub_f32_e32 v120, v24, v12
	v_mul_f32_e32 v121, 0.5, v61
	v_mul_f32_e32 v50, -0.5, v50
	ds_write2_b32 v114, v11, v25 offset1:100
	v_add_f32_e32 v21, v21, v2
	v_fmac_f32_e32 v121, 0x3f5db3d7, v58
	s_waitcnt lgkmcnt(0)
	s_barrier
	ds_read_b32 v64, v80
	ds_read2_b32 v[56:57], v65 offset0:88 offset1:208
	ds_read2_b32 v[2:3], v46 offset0:56 offset1:176
	;; [unrolled: 1-line block ×12, first 2 shown]
	ds_read_b32 v34, v77
	ds_read_b32 v52, v76
	;; [unrolled: 1-line block ×4, first 2 shown]
	ds_read_b32 v6, v80 offset:13920
	v_fmamk_f32 v76, v120, 0x3f5db3d7, v99
	v_fmac_f32_e32 v99, 0xbf5db3d7, v120
	v_fmac_f32_e32 v50, 0x3f5db3d7, v16
	v_add_f32_e32 v77, v119, v21
	v_sub_f32_e32 v16, v119, v21
	v_add_f32_e32 v21, v99, v50
	s_waitcnt lgkmcnt(0)
	s_barrier
	ds_write2_b32 v101, v21, v16 offset0:72 offset1:172
	v_sub_f32_e32 v16, v76, v121
	v_sub_f32_e32 v21, v99, v50
	ds_write2_b32 v33, v16, v21 offset0:144 offset1:244
	v_add_f32_e32 v21, v69, v85
	v_add_f32_e32 v16, v90, v69
	v_fmac_f32_e32 v90, -0.5, v21
	v_sub_f32_e32 v21, v67, v84
	v_fmamk_f32 v67, v21, 0x3f5db3d7, v90
	v_fmac_f32_e32 v90, 0xbf5db3d7, v21
	v_mul_f32_e32 v21, -0.5, v62
	v_add_f32_e32 v16, v16, v85
	v_add_f32_e32 v33, v100, v88
	v_mul_f32_e32 v50, 0.5, v103
	v_fmac_f32_e32 v21, 0x3f5db3d7, v51
	v_add_f32_e32 v122, v76, v121
	v_fmac_f32_e32 v50, 0x3f5db3d7, v93
	v_add_f32_e32 v69, v16, v33
	v_sub_f32_e32 v16, v16, v33
	v_add_f32_e32 v33, v90, v21
	ds_write2_b32 v97, v77, v122 offset1:100
	ds_write2_b32 v104, v33, v16 offset0:72 offset1:172
	v_sub_f32_e32 v16, v67, v50
	v_sub_f32_e32 v21, v90, v21
	ds_write2_b32 v32, v16, v21 offset0:144 offset1:244
	v_add_f32_e32 v21, v70, v83
	v_add_f32_e32 v16, v86, v70
	v_fmac_f32_e32 v86, -0.5, v21
	v_sub_f32_e32 v15, v15, v82
	v_fmamk_f32 v33, v15, 0x3f5db3d7, v86
	v_fmac_f32_e32 v86, 0xbf5db3d7, v15
	v_mul_f32_e32 v15, -0.5, v71
	v_add_f32_e32 v16, v16, v83
	v_add_f32_e32 v21, v105, v87
	v_mul_f32_e32 v32, 0.5, v106
	v_fmac_f32_e32 v15, 0x3f5db3d7, v63
	v_add_f32_e32 v76, v67, v50
	v_fmac_f32_e32 v32, 0x3f5db3d7, v95
	v_add_f32_e32 v50, v16, v21
	v_sub_f32_e32 v16, v16, v21
	v_add_f32_e32 v21, v86, v15
	ds_write2_b32 v102, v69, v76 offset1:100
	ds_write2_b32 v107, v21, v16 offset0:72 offset1:172
	v_sub_f32_e32 v16, v33, v32
	v_sub_f32_e32 v15, v86, v15
	ds_write2_b32 v108, v16, v15 offset0:144 offset1:244
	v_add_f32_e32 v16, v72, v81
	v_add_f32_e32 v15, v98, v72
	v_fmac_f32_e32 v98, -0.5, v16
	v_sub_f32_e32 v16, v68, v78
	v_add_f32_e32 v51, v33, v32
	v_fmamk_f32 v32, v16, 0x3f5db3d7, v98
	v_fmac_f32_e32 v98, 0xbf5db3d7, v16
	v_mul_f32_e32 v16, -0.5, v23
	v_fmac_f32_e32 v16, 0x3f5db3d7, v22
	v_add_f32_e32 v22, v91, v19
	v_mul_f32_e32 v21, 0.5, v110
	v_add_f32_e32 v22, v22, v7
	v_add_f32_e32 v7, v19, v7
	;; [unrolled: 1-line block ×4, first 2 shown]
	v_fmac_f32_e32 v21, 0x3f5db3d7, v89
	v_fmac_f32_e32 v91, -0.5, v7
	v_sub_f32_e32 v7, v66, v13
	v_mul_f32_e32 v19, 0.5, v116
	v_mul_f32_e32 v14, -0.5, v14
	ds_write2_b32 v94, v50, v51 offset1:100
	v_add_f32_e32 v33, v15, v1
	v_add_f32_e32 v50, v32, v21
	v_sub_f32_e32 v1, v15, v1
	v_sub_f32_e32 v15, v32, v21
	v_add_f32_e32 v21, v98, v16
	v_fmamk_f32 v13, v7, 0x3f5db3d7, v91
	v_fmac_f32_e32 v91, 0xbf5db3d7, v7
	v_add_f32_e32 v7, v113, v20
	v_fmac_f32_e32 v19, 0x3f5db3d7, v115
	s_mov_b32 s0, -0.5
	v_fmac_f32_e32 v14, 0x3f5db3d7, v18
	ds_write2_b32 v96, v33, v50 offset1:100
	v_sub_f32_e32 v16, v98, v16
	v_add_f32_e32 v18, v22, v7
	v_sub_f32_e32 v7, v22, v7
	v_add_f32_e32 v20, v13, v19
	;; [unrolled: 2-line block ×3, first 2 shown]
	v_sub_f32_e32 v14, v91, v14
	ds_write2_b32 v111, v21, v1 offset0:72 offset1:172
	ds_write2_b32 v112, v15, v16 offset0:144 offset1:244
	ds_write2_b32 v114, v18, v20 offset1:100
	ds_write2_b32 v117, v19, v7 offset0:72 offset1:172
	ds_write2_b32 v118, v13, v14 offset0:144 offset1:244
	s_waitcnt lgkmcnt(0)
	s_barrier
	s_and_saveexec_b64 s[12:13], vcc
	s_cbranch_execz .LBB0_15
; %bb.14:
	v_mul_i32_i24_e32 v16, 5, v136
	v_lshl_add_u64 v[32:33], v[16:17], 3, s[8:9]
	v_mul_i32_i24_e32 v16, 5, v40
	v_lshl_add_u64 v[50:51], v[16:17], 3, s[8:9]
	;; [unrolled: 2-line block ×4, first 2 shown]
	v_mul_u32_u24_e32 v16, 5, v134
	v_lshlrev_b32_e32 v16, 3, v16
	v_lshl_add_u64 v[16:17], s[8:9], 0, v[16:17]
	v_add_co_u32_e32 v40, vcc, s10, v16
	v_mul_i32_i24_e32 v66, 0xffffffdc, v41
	v_mul_lo_u32 v1, s3, v38
	v_mul_lo_u32 v13, s2, v39
	v_mad_u64_u32 v[90:91], s[2:3], s2, v38, 0
	v_addc_co_u32_e32 v41, vcc, 0, v17, vcc
	v_add3_u32 v91, v91, v13, v1
	ds_read2_b32 v[22:23], v31 offset0:24 offset1:144
	ds_read2_b32 v[20:21], v30 offset0:72 offset1:192
	s_mov_b64 s[2:3], 0x1270
	ds_read2_b32 v[14:15], v46 offset0:56 offset1:176
	ds_read2_b32 v[18:19], v47 offset0:104 offset1:224
	ds_read_b32 v1, v49
	ds_read_b32 v13, v75
	global_load_dwordx4 v[82:85], v[40:41], off offset:624
	ds_read2_b32 v[38:39], v48 offset0:72 offset1:192
	ds_read2_b32 v[48:49], v35 offset0:120 offset1:240
	ds_read2_b32 v[40:41], v55 offset0:40 offset1:160
	v_add_u32_e32 v35, v92, v66
	v_lshl_add_u64 v[16:17], v[16:17], 0, s[2:3]
	ds_read_b32 v35, v35
	global_load_dwordx2 v[92:93], v[16:17], off offset:32
	global_load_dwordx4 v[86:89], v[16:17], off offset:16
	v_mul_i32_i24_e32 v7, 0xffffffdc, v135
	v_lshl_add_u64 v[30:31], v[32:33], 0, s[2:3]
	v_lshl_add_u64 v[46:47], v[50:51], 0, s[2:3]
	v_lshl_add_u64 v[68:69], v[62:63], 0, s[2:3]
	v_add_u32_e32 v7, v79, v7
	v_lshl_add_u64 v[94:95], v[76:77], 0, s[2:3]
	s_mov_b32 s2, 0x1b4e81b5
	ds_read2_b32 v[66:67], v53 offset0:40 offset1:160
	ds_read2_b32 v[54:55], v54 offset0:88 offset1:208
	ds_read_b32 v53, v7
	v_mul_hi_u32 v7, v134, s2
	v_lshrrev_b32_e32 v7, 6, v7
	v_mul_u32_u24_e32 v7, 0x258, v7
	v_sub_u32_e32 v7, v134, v7
	v_mad_u64_u32 v[78:79], s[8:9], s16, v7, 0
	ds_read2_b32 v[70:71], v65 offset0:88 offset1:208
	ds_read2_b32 v[74:75], v74 offset0:8 offset1:128
	;; [unrolled: 1-line block ×3, first 2 shown]
	ds_read_b32 v16, v80 offset:13920
	ds_read_b32 v65, v80
	v_mov_b32_e32 v80, v79
	v_mad_u64_u32 v[80:81], s[8:9], s17, v7, v[80:81]
	v_mov_b32_e32 v79, v80
	v_lshl_add_u64 v[80:81], v[90:91], 3, s[6:7]
	v_lshl_add_u64 v[36:37], v[36:37], 3, v[80:81]
	v_add_u32_e32 v17, 0x258, v7
	v_lshl_add_u64 v[90:91], v[78:79], 3, v[36:37]
	v_mad_u64_u32 v[78:79], s[6:7], s16, v17, 0
	v_mov_b32_e32 v80, v79
	v_mad_u64_u32 v[80:81], s[6:7], s17, v17, v[80:81]
	v_mov_b32_e32 v79, v80
	v_add_u32_e32 v17, 0x4b0, v7
	v_lshl_add_u64 v[96:97], v[78:79], 3, v[36:37]
	v_mad_u64_u32 v[78:79], s[6:7], s16, v17, 0
	v_mov_b32_e32 v80, v79
	v_mad_u64_u32 v[80:81], s[6:7], s17, v17, v[80:81]
	v_mov_b32_e32 v79, v80
	;; [unrolled: 6-line block ×4, first 2 shown]
	v_add_u32_e32 v7, 0xbb8, v7
	v_lshl_add_u64 v[102:103], v[78:79], 3, v[36:37]
	v_mad_u64_u32 v[78:79], s[6:7], s16, v7, 0
	v_mov_b32_e32 v80, v79
	v_mad_u64_u32 v[80:81], s[6:7], s17, v7, v[80:81]
	s_waitcnt lgkmcnt(14)
	v_mov_b32_e32 v106, v15
	v_mov_b32_e32 v79, v80
	;; [unrolled: 1-line block ×3, first 2 shown]
	v_add_co_u32_e32 v76, vcc, s10, v76
	v_lshl_add_u64 v[104:105], v[78:79], 3, v[36:37]
	s_nop 0
	v_addc_co_u32_e32 v77, vcc, 0, v77, vcc
	global_load_dwordx4 v[76:79], v[76:77], off offset:624
	s_mov_b32 s1, s4
	s_movk_i32 s3, 0xe10
	s_waitcnt vmcnt(3)
	v_pk_mul_f32 v[106:107], v[84:85], v[106:107] op_sel_hi:[1,0]
	s_nop 0
	v_pk_fma_f32 v[108:109], v[80:81], v[84:85], v[106:107] op_sel:[0,0,1] op_sel_hi:[1,1,0]
	v_pk_fma_f32 v[80:81], v[80:81], v[84:85], v[106:107] op_sel:[0,0,1] op_sel_hi:[0,1,0] neg_lo:[1,0,0] neg_hi:[1,0,0]
	v_mov_b32_e32 v84, v19
	v_mov_b32_e32 v80, v5
	;; [unrolled: 1-line block ×3, first 2 shown]
	s_waitcnt vmcnt(1)
	v_pk_mul_f32 v[84:85], v[88:89], v[84:85] op_sel_hi:[1,0]
	s_nop 0
	v_pk_fma_f32 v[106:107], v[80:81], v[88:89], v[84:85] op_sel:[0,0,1] op_sel_hi:[1,1,0]
	v_pk_fma_f32 v[80:81], v[80:81], v[88:89], v[84:85] op_sel:[0,0,1] op_sel_hi:[0,1,0] neg_lo:[1,0,0] neg_hi:[1,0,0]
	v_mov_b32_e32 v107, v81
	v_pk_add_f32 v[80:81], v[108:109], v[106:107]
	v_pk_add_f32 v[84:85], v[108:109], v[106:107] neg_lo:[0,1] neg_hi:[0,1]
	s_waitcnt lgkmcnt(0)
	v_pk_fma_f32 v[80:81], v[80:81], 0.5, v[64:65] op_sel_hi:[1,0,1] neg_lo:[1,0,0] neg_hi:[1,0,0]
	v_pk_mul_f32 v[84:85], v[84:85], s[4:5] op_sel_hi:[1,0]
	v_pk_add_f32 v[64:65], v[64:65], v[108:109]
	v_pk_add_f32 v[88:89], v[84:85], v[80:81] op_sel:[1,0] op_sel_hi:[0,1]
	v_pk_add_f32 v[84:85], v[80:81], v[84:85] op_sel:[0,1] op_sel_hi:[1,0] neg_lo:[0,1] neg_hi:[0,1]
	v_pk_mul_f32 v[80:81], v[86:87], v[74:75] op_sel_hi:[1,0]
	v_mov_b32_e32 v111, v85
	v_pk_fma_f32 v[112:113], v[60:61], v[86:87], v[80:81] op_sel:[0,0,1] op_sel_hi:[1,1,0]
	v_pk_fma_f32 v[80:81], v[60:61], v[86:87], v[80:81] op_sel:[0,0,1] op_sel_hi:[0,1,0] neg_lo:[1,0,0] neg_hi:[1,0,0]
	v_mov_b32_e32 v113, v81
	v_pk_mul_f32 v[80:81], v[92:93], v[72:73] op_sel_hi:[1,0]
	v_pk_add_f32 v[64:65], v[64:65], v[106:107]
	v_pk_fma_f32 v[86:87], v[58:59], v[92:93], v[80:81] op_sel:[0,0,1] op_sel_hi:[1,1,0]
	v_pk_fma_f32 v[80:81], v[58:59], v[92:93], v[80:81] op_sel:[0,0,1] op_sel_hi:[0,1,0] neg_lo:[1,0,0] neg_hi:[1,0,0]
	v_mov_b32_e32 v87, v81
	v_pk_mul_f32 v[92:93], v[82:83], v[70:71] op_sel_hi:[1,0]
	v_pk_add_f32 v[80:81], v[112:113], v[86:87]
	v_pk_fma_f32 v[114:115], v[56:57], v[82:83], v[92:93] op_sel:[0,0,1] op_sel_hi:[0,1,0]
	v_pk_fma_f32 v[82:83], v[56:57], v[82:83], v[92:93] op_sel:[0,0,1] op_sel_hi:[0,1,0] neg_lo:[1,0,0] neg_hi:[1,0,0]
	v_mov_b32_e32 v115, v83
	v_mov_b32_e32 v3, v114
	v_pk_add_f32 v[92:93], v[112:113], v[86:87] neg_lo:[0,1] neg_hi:[0,1]
	v_fmac_f32_e32 v83, -0.5, v81
	v_fmac_f32_e32 v3, -0.5, v80
	v_fmamk_f32 v58, v92, 0xbf5db3d7, v83
	v_fmac_f32_e32 v83, 0x3f5db3d7, v92
	v_fmamk_f32 v56, v93, 0x3f5db3d7, v3
	v_fmac_f32_e32 v3, 0xbf5db3d7, v93
	v_mul_f32_e32 v5, 0.5, v83
	v_mul_f32_e32 v7, 0xbf5db3d7, v83
	global_load_dwordx2 v[92:93], v[94:95], off offset:32
	global_load_dwordx4 v[80:83], v[94:95], off offset:16
	v_fmac_f32_e32 v5, 0x3f5db3d7, v3
	v_fmac_f32_e32 v7, 0.5, v3
	v_pk_add_f32 v[94:95], v[114:115], v[112:113]
	v_add_u32_e32 v3, 0x78, v134
	v_pk_add_f32 v[86:87], v[94:95], v[86:87]
	v_sub_f32_e32 v95, v89, v5
	v_add_f32_e32 v85, v89, v5
	v_mul_hi_u32 v5, v3, s2
	v_lshrrev_b32_e32 v5, 6, v5
	v_pk_mul_f32 v[112:113], v[58:59], s[4:5] op_sel_hi:[0,1]
	v_sub_f32_e32 v94, v84, v7
	v_add_f32_e32 v84, v84, v7
	v_mul_u32_u24_e32 v7, 0x258, v5
	v_mov_b32_e32 v110, v88
	v_pk_fma_f32 v[112:113], v[56:57], s[0:1], v[112:113] op_sel_hi:[0,1,1] neg_lo:[0,0,1] neg_hi:[0,0,1]
	v_pk_add_f32 v[106:107], v[64:65], v[86:87] neg_lo:[0,1] neg_hi:[0,1]
	v_pk_add_f32 v[64:65], v[64:65], v[86:87]
	v_sub_u32_e32 v3, v3, v7
	global_store_dwordx2 v[90:91], v[64:65], off
	global_store_dwordx2 v[96:97], v[84:85], off
	v_pk_add_f32 v[64:65], v[110:111], v[112:113]
	v_mad_u32_u24 v3, v5, s3, v3
	v_pk_add_f32 v[114:115], v[110:111], v[112:113] neg_lo:[0,1] neg_hi:[0,1]
	global_store_dwordx2 v[98:99], v[64:65], off
	global_store_dwordx2 v[100:101], v[106:107], off
	global_store_dwordx2 v[102:103], v[94:95], off
	global_store_dwordx2 v[104:105], v[114:115], off
	v_mad_u64_u32 v[64:65], s[6:7], s16, v3, 0
	v_mov_b32_e32 v56, v65
	v_mad_u64_u32 v[84:85], s[6:7], s17, v3, v[56:57]
	v_add_u32_e32 v5, 0x258, v3
	v_mov_b32_e32 v65, v84
	v_mad_u64_u32 v[84:85], s[6:7], s16, v5, 0
	v_mov_b32_e32 v56, v85
	v_mad_u64_u32 v[86:87], s[6:7], s17, v5, v[56:57]
	v_add_u32_e32 v5, 0x4b0, v3
	v_mov_b32_e32 v85, v86
	;; [unrolled: 5-line block ×5, first 2 shown]
	v_mad_u64_u32 v[94:95], s[6:7], s16, v3, 0
	v_mov_b32_e32 v56, v95
	v_mad_u64_u32 v[96:97], s[6:7], s17, v3, v[56:57]
	v_mov_b32_e32 v95, v96
	s_waitcnt vmcnt(8)
	v_pk_mul_f32 v[96:97], v[78:79], v[66:67] op_sel_hi:[1,0]
	v_lshl_add_u64 v[64:65], v[64:65], 3, v[36:37]
	v_pk_fma_f32 v[98:99], v[44:45], v[78:79], v[96:97] op_sel:[0,0,1] op_sel_hi:[1,1,0]
	v_pk_fma_f32 v[78:79], v[44:45], v[78:79], v[96:97] op_sel:[0,0,1] op_sel_hi:[0,1,0] neg_lo:[1,0,0] neg_hi:[1,0,0]
	v_mov_b32_e32 v99, v79
	v_lshl_add_u64 v[84:85], v[84:85], 3, v[36:37]
	v_lshl_add_u64 v[86:87], v[86:87], 3, v[36:37]
	;; [unrolled: 1-line block ×5, first 2 shown]
	s_waitcnt vmcnt(6)
	v_pk_mul_f32 v[78:79], v[82:83], v[54:55] op_sel_hi:[1,0]
	s_nop 0
	v_pk_fma_f32 v[96:97], v[42:43], v[82:83], v[78:79] op_sel:[0,0,1] op_sel_hi:[1,1,0]
	v_pk_fma_f32 v[78:79], v[42:43], v[82:83], v[78:79] op_sel:[0,0,1] op_sel_hi:[0,1,0] neg_lo:[1,0,0] neg_hi:[1,0,0]
	v_mov_b32_e32 v42, v75
	v_pk_mul_f32 v[74:75], v[80:81], v[42:43] op_sel_hi:[1,0]
	v_mov_b32_e32 v42, v61
	v_pk_fma_f32 v[102:103], v[42:43], v[80:81], v[74:75] op_sel:[0,0,1] op_sel_hi:[1,1,0]
	v_pk_fma_f32 v[60:61], v[42:43], v[80:81], v[74:75] op_sel:[0,0,1] op_sel_hi:[0,1,0] neg_lo:[1,0,0] neg_hi:[1,0,0]
	v_mov_b32_e32 v42, v73
	v_mov_b32_e32 v103, v61
	v_pk_mul_f32 v[60:61], v[92:93], v[42:43] op_sel_hi:[1,0]
	v_mov_b32_e32 v42, v59
	v_pk_fma_f32 v[72:73], v[42:43], v[92:93], v[60:61] op_sel:[0,0,1] op_sel_hi:[1,1,0]
	v_pk_fma_f32 v[58:59], v[42:43], v[92:93], v[60:61] op_sel:[0,0,1] op_sel_hi:[0,1,0] neg_lo:[1,0,0] neg_hi:[1,0,0]
	v_mov_b32_e32 v42, v71
	v_pk_mul_f32 v[60:61], v[76:77], v[42:43] op_sel_hi:[1,0]
	v_mov_b32_e32 v42, v57
	v_mov_b32_e32 v73, v59
	v_pk_fma_f32 v[56:57], v[42:43], v[76:77], v[60:61] op_sel:[0,0,1] op_sel_hi:[0,1,0]
	v_pk_fma_f32 v[60:61], v[42:43], v[76:77], v[60:61] op_sel:[0,0,1] op_sel_hi:[0,1,0] neg_lo:[1,0,0] neg_hi:[1,0,0]
	v_pk_add_f32 v[58:59], v[102:103], v[72:73]
	v_mov_b32_e32 v57, v61
	v_mov_b32_e32 v3, v56
	v_fmac_f32_e32 v3, -0.5, v58
	v_pk_add_f32 v[70:71], v[102:103], v[72:73] neg_lo:[0,1] neg_hi:[0,1]
	v_fmac_f32_e32 v61, -0.5, v59
	v_pk_add_f32 v[56:57], v[56:57], v[102:103]
	v_fmamk_f32 v42, v71, 0x3f5db3d7, v3
	v_fmamk_f32 v44, v70, 0xbf5db3d7, v61
	v_fmac_f32_e32 v3, 0xbf5db3d7, v71
	v_fmac_f32_e32 v61, 0x3f5db3d7, v70
	v_pk_add_f32 v[70:71], v[56:57], v[72:73]
	v_add_co_u32_e32 v56, vcc, s10, v62
	v_mul_f32_e32 v5, 0.5, v61
	s_nop 0
	v_addc_co_u32_e32 v57, vcc, 0, v63, vcc
	global_load_dwordx4 v[56:59], v[56:57], off offset:624
	v_mul_f32_e32 v7, 0xbf5db3d7, v61
	v_pk_mul_f32 v[60:61], v[44:45], s[4:5] op_sel_hi:[0,1]
	v_pk_fma_f32 v[74:75], v[42:43], s[0:1], v[60:61] op_sel_hi:[0,1,1] neg_lo:[0,0,1] neg_hi:[0,0,1]
	global_load_dwordx2 v[80:81], v[68:69], off offset:32
	global_load_dwordx4 v[60:63], v[68:69], off offset:16
	v_mov_b32_e32 v97, v79
	v_pk_add_f32 v[78:79], v[98:99], v[96:97]
	v_pk_add_f32 v[82:83], v[98:99], v[96:97] neg_lo:[0,1] neg_hi:[0,1]
	v_pk_fma_f32 v[78:79], v[78:79], 0.5, v[52:53] op_sel_hi:[1,0,1] neg_lo:[1,0,0] neg_hi:[1,0,0]
	v_pk_mul_f32 v[82:83], v[82:83], s[4:5] op_sel_hi:[1,0]
	v_fmac_f32_e32 v5, 0x3f5db3d7, v3
	v_pk_add_f32 v[100:101], v[82:83], v[78:79] op_sel:[1,0] op_sel_hi:[0,1]
	v_pk_add_f32 v[78:79], v[78:79], v[82:83] op_sel:[0,1] op_sel_hi:[1,0] neg_lo:[0,1] neg_hi:[0,1]
	v_fmac_f32_e32 v7, 0.5, v3
	v_add_u32_e32 v3, 0xf0, v134
	v_mov_b32_e32 v83, v79
	v_sub_f32_e32 v73, v101, v5
	v_add_f32_e32 v79, v101, v5
	v_mul_hi_u32 v5, v3, s2
	v_pk_add_f32 v[52:53], v[52:53], v[98:99]
	v_lshrrev_b32_e32 v5, 6, v5
	v_sub_f32_e32 v72, v78, v7
	v_pk_add_f32 v[52:53], v[52:53], v[96:97]
	v_add_f32_e32 v78, v78, v7
	v_mul_u32_u24_e32 v7, 0x258, v5
	v_mov_b32_e32 v82, v100
	v_pk_add_f32 v[68:69], v[52:53], v[70:71] neg_lo:[0,1] neg_hi:[0,1]
	v_pk_add_f32 v[52:53], v[52:53], v[70:71]
	v_sub_u32_e32 v3, v3, v7
	global_store_dwordx2 v[64:65], v[52:53], off
	global_store_dwordx2 v[84:85], v[78:79], off
	v_pk_add_f32 v[52:53], v[82:83], v[74:75]
	v_mad_u32_u24 v3, v5, s3, v3
	v_pk_add_f32 v[76:77], v[82:83], v[74:75] neg_lo:[0,1] neg_hi:[0,1]
	global_store_dwordx2 v[86:87], v[52:53], off
	global_store_dwordx2 v[88:89], v[68:69], off
	;; [unrolled: 1-line block ×4, first 2 shown]
	v_mad_u64_u32 v[52:53], s[6:7], s16, v3, 0
	v_mov_b32_e32 v42, v53
	v_mad_u64_u32 v[64:65], s[6:7], s17, v3, v[42:43]
	v_mov_b32_e32 v53, v64
	v_add_u32_e32 v5, 0x258, v3
	v_lshl_add_u64 v[64:65], v[52:53], 3, v[36:37]
	v_mad_u64_u32 v[52:53], s[6:7], s16, v5, 0
	v_mov_b32_e32 v42, v53
	v_mad_u64_u32 v[68:69], s[6:7], s17, v5, v[42:43]
	v_mov_b32_e32 v53, v68
	v_add_u32_e32 v5, 0x4b0, v3
	v_lshl_add_u64 v[68:69], v[52:53], 3, v[36:37]
	;; [unrolled: 6-line block ×5, first 2 shown]
	v_mad_u64_u32 v[52:53], s[6:7], s16, v3, 0
	v_mov_b32_e32 v42, v53
	v_mov_b32_e32 v44, v67
	v_mad_u64_u32 v[76:77], s[6:7], s17, v3, v[42:43]
	v_mov_b32_e32 v42, v45
	s_waitcnt vmcnt(8)
	v_pk_mul_f32 v[66:67], v[58:59], v[44:45] op_sel_hi:[1,0]
	v_add_co_u32_e32 v50, vcc, s10, v50
	v_pk_fma_f32 v[44:45], v[42:43], v[58:59], v[66:67] op_sel:[0,0,1] op_sel_hi:[0,1,0] neg_lo:[1,0,0] neg_hi:[1,0,0]
	v_pk_fma_f32 v[78:79], v[42:43], v[58:59], v[66:67] op_sel:[0,0,1] op_sel_hi:[1,1,0]
	v_mov_b32_e32 v44, v55
	v_mov_b32_e32 v79, v45
	;; [unrolled: 1-line block ×3, first 2 shown]
	s_waitcnt vmcnt(6)
	v_pk_mul_f32 v[44:45], v[62:63], v[44:45] op_sel_hi:[1,0]
	v_mov_b32_e32 v53, v76
	v_pk_fma_f32 v[54:55], v[42:43], v[62:63], v[44:45] op_sel:[0,0,1] op_sel_hi:[1,1,0]
	v_pk_fma_f32 v[42:43], v[42:43], v[62:63], v[44:45] op_sel:[0,0,1] op_sel_hi:[0,1,0] neg_lo:[1,0,0] neg_hi:[1,0,0]
	v_mov_b32_e32 v55, v43
	v_pk_add_f32 v[42:43], v[78:79], v[54:55]
	v_pk_add_f32 v[44:45], v[78:79], v[54:55] neg_lo:[0,1] neg_hi:[0,1]
	v_pk_fma_f32 v[42:43], v[42:43], 0.5, v[34:35] op_sel_hi:[1,0,1] neg_lo:[1,0,0] neg_hi:[1,0,0]
	v_pk_mul_f32 v[44:45], v[44:45], s[4:5] op_sel_hi:[1,0]
	v_addc_co_u32_e32 v51, vcc, 0, v51, vcc
	v_pk_add_f32 v[58:59], v[44:45], v[42:43] op_sel:[1,0] op_sel_hi:[0,1]
	v_pk_add_f32 v[62:63], v[42:43], v[44:45] op_sel:[0,1] op_sel_hi:[1,0] neg_lo:[0,1] neg_hi:[0,1]
	v_pk_mul_f32 v[42:43], v[60:61], v[48:49] op_sel_hi:[1,0]
	v_pk_mul_f32 v[44:45], v[56:57], v[38:39] op_sel_hi:[1,0]
	v_pk_fma_f32 v[82:83], v[28:29], v[60:61], v[42:43] op_sel:[0,0,1] op_sel_hi:[1,1,0]
	v_pk_fma_f32 v[42:43], v[28:29], v[60:61], v[42:43] op_sel:[0,0,1] op_sel_hi:[0,1,0] neg_lo:[1,0,0] neg_hi:[1,0,0]
	v_mov_b32_e32 v83, v43
	v_pk_mul_f32 v[42:43], v[80:81], v[40:41] op_sel_hi:[1,0]
	v_lshl_add_u64 v[76:77], v[52:53], 3, v[36:37]
	v_pk_fma_f32 v[60:61], v[26:27], v[80:81], v[42:43] op_sel:[0,0,1] op_sel_hi:[1,1,0]
	v_pk_fma_f32 v[42:43], v[26:27], v[80:81], v[42:43] op_sel:[0,0,1] op_sel_hi:[0,1,0] neg_lo:[1,0,0] neg_hi:[1,0,0]
	v_mov_b32_e32 v61, v43
	v_pk_fma_f32 v[80:81], v[24:25], v[56:57], v[44:45] op_sel:[0,0,1] op_sel_hi:[0,1,0]
	global_load_dwordx4 v[50:53], v[50:51], off offset:624
	v_pk_add_f32 v[42:43], v[82:83], v[60:61]
	v_pk_fma_f32 v[56:57], v[24:25], v[56:57], v[44:45] op_sel:[0,0,1] op_sel_hi:[0,1,0] neg_lo:[1,0,0] neg_hi:[1,0,0]
	v_mov_b32_e32 v3, v80
	v_mov_b32_e32 v81, v57
	v_fmac_f32_e32 v3, -0.5, v42
	v_pk_add_f32 v[44:45], v[82:83], v[60:61] neg_lo:[0,1] neg_hi:[0,1]
	v_fmac_f32_e32 v57, -0.5, v43
	v_fmamk_f32 v24, v45, 0x3f5db3d7, v3
	v_fmamk_f32 v26, v44, 0xbf5db3d7, v57
	v_fmac_f32_e32 v3, 0xbf5db3d7, v45
	v_fmac_f32_e32 v57, 0x3f5db3d7, v44
	global_load_dwordx2 v[84:85], v[46:47], off offset:32
	global_load_dwordx4 v[42:45], v[46:47], off offset:16
	v_mul_f32_e32 v5, 0.5, v57
	v_mul_f32_e32 v7, 0xbf5db3d7, v57
	v_fmac_f32_e32 v5, 0x3f5db3d7, v3
	v_fmac_f32_e32 v7, 0.5, v3
	v_add_u32_e32 v3, 0x168, v134
	v_sub_f32_e32 v57, v59, v5
	v_add_f32_e32 v59, v59, v5
	v_mul_hi_u32 v5, v3, s2
	v_pk_add_f32 v[46:47], v[80:81], v[82:83]
	v_pk_add_f32 v[34:35], v[34:35], v[78:79]
	v_lshrrev_b32_e32 v5, 6, v5
	v_mov_b32_e32 v66, v58
	v_pk_add_f32 v[46:47], v[46:47], v[60:61]
	v_pk_mul_f32 v[60:61], v[26:27], s[4:5] op_sel_hi:[0,1]
	v_sub_f32_e32 v56, v62, v7
	v_pk_add_f32 v[34:35], v[34:35], v[54:55]
	v_add_f32_e32 v58, v62, v7
	v_mul_u32_u24_e32 v7, 0x258, v5
	v_mov_b32_e32 v67, v63
	v_pk_fma_f32 v[60:61], v[24:25], s[0:1], v[60:61] op_sel_hi:[0,1,1] neg_lo:[0,0,1] neg_hi:[0,0,1]
	v_pk_add_f32 v[54:55], v[34:35], v[46:47] neg_lo:[0,1] neg_hi:[0,1]
	v_pk_add_f32 v[34:35], v[34:35], v[46:47]
	v_sub_u32_e32 v3, v3, v7
	global_store_dwordx2 v[64:65], v[34:35], off
	global_store_dwordx2 v[68:69], v[58:59], off
	v_pk_add_f32 v[34:35], v[66:67], v[60:61]
	v_mad_u32_u24 v3, v5, s3, v3
	v_pk_add_f32 v[80:81], v[66:67], v[60:61] neg_lo:[0,1] neg_hi:[0,1]
	global_store_dwordx2 v[70:71], v[34:35], off
	global_store_dwordx2 v[72:73], v[54:55], off
	;; [unrolled: 1-line block ×4, first 2 shown]
	v_mad_u64_u32 v[34:35], s[6:7], s16, v3, 0
	v_mov_b32_e32 v24, v35
	v_mad_u64_u32 v[46:47], s[6:7], s17, v3, v[24:25]
	v_mov_b32_e32 v35, v46
	v_add_u32_e32 v5, 0x258, v3
	v_lshl_add_u64 v[46:47], v[34:35], 3, v[36:37]
	v_mad_u64_u32 v[34:35], s[6:7], s16, v5, 0
	v_mov_b32_e32 v24, v35
	v_mad_u64_u32 v[54:55], s[6:7], s17, v5, v[24:25]
	v_mov_b32_e32 v35, v54
	v_add_u32_e32 v5, 0x4b0, v3
	v_lshl_add_u64 v[54:55], v[34:35], 3, v[36:37]
	;; [unrolled: 6-line block ×5, first 2 shown]
	v_mad_u64_u32 v[34:35], s[6:7], s16, v3, 0
	v_mov_b32_e32 v24, v35
	v_mad_u64_u32 v[62:63], s[6:7], s17, v3, v[24:25]
	v_mov_b32_e32 v35, v62
	v_lshl_add_u64 v[62:63], v[34:35], 3, v[36:37]
	s_waitcnt vmcnt(8)
	v_pk_mul_f32 v[34:35], v[52:53], v[22:23] op_sel_hi:[1,0]
	s_nop 0
	v_pk_fma_f32 v[64:65], v[10:11], v[52:53], v[34:35] op_sel:[0,0,1] op_sel_hi:[1,1,0]
	v_pk_fma_f32 v[34:35], v[10:11], v[52:53], v[34:35] op_sel:[0,0,1] op_sel_hi:[0,1,0] neg_lo:[1,0,0] neg_hi:[1,0,0]
	v_mov_b32_e32 v65, v35
	s_waitcnt vmcnt(6)
	v_pk_mul_f32 v[34:35], v[44:45], v[20:21] op_sel_hi:[1,0]
	s_nop 0
	v_pk_fma_f32 v[52:53], v[8:9], v[44:45], v[34:35] op_sel:[0,0,1] op_sel_hi:[1,1,0]
	v_pk_fma_f32 v[34:35], v[8:9], v[44:45], v[34:35] op_sel:[0,0,1] op_sel_hi:[0,1,0] neg_lo:[1,0,0] neg_hi:[1,0,0]
	v_mov_b32_e32 v53, v35
	v_pk_add_f32 v[34:35], v[64:65], v[52:53]
	v_pk_add_f32 v[44:45], v[64:65], v[52:53] neg_lo:[0,1] neg_hi:[0,1]
	v_pk_fma_f32 v[34:35], v[34:35], 0.5, v[12:13] op_sel_hi:[1,0,1] neg_lo:[1,0,0] neg_hi:[1,0,0]
	v_pk_mul_f32 v[44:45], v[44:45], s[4:5] op_sel_hi:[1,0]
	v_mov_b32_e32 v8, v49
	v_pk_add_f32 v[66:67], v[44:45], v[34:35] op_sel:[1,0] op_sel_hi:[0,1]
	v_pk_add_f32 v[44:45], v[34:35], v[44:45] op_sel:[0,1] op_sel_hi:[1,0] neg_lo:[0,1] neg_hi:[0,1]
	v_pk_mul_f32 v[34:35], v[42:43], v[8:9] op_sel_hi:[1,0]
	v_mov_b32_e32 v8, v29
	v_pk_fma_f32 v[48:49], v[8:9], v[42:43], v[34:35] op_sel:[0,0,1] op_sel_hi:[1,1,0]
	v_pk_fma_f32 v[28:29], v[8:9], v[42:43], v[34:35] op_sel:[0,0,1] op_sel_hi:[0,1,0] neg_lo:[1,0,0] neg_hi:[1,0,0]
	v_mov_b32_e32 v8, v41
	v_mov_b32_e32 v49, v29
	v_pk_mul_f32 v[28:29], v[84:85], v[8:9] op_sel_hi:[1,0]
	v_mov_b32_e32 v8, v27
	v_pk_fma_f32 v[34:35], v[8:9], v[84:85], v[28:29] op_sel:[0,0,1] op_sel_hi:[1,1,0]
	v_pk_fma_f32 v[26:27], v[8:9], v[84:85], v[28:29] op_sel:[0,0,1] op_sel_hi:[0,1,0] neg_lo:[1,0,0] neg_hi:[1,0,0]
	v_mov_b32_e32 v8, v39
	v_mov_b32_e32 v35, v27
	v_pk_mul_f32 v[28:29], v[50:51], v[8:9] op_sel_hi:[1,0]
	v_mov_b32_e32 v8, v25
	v_pk_add_f32 v[26:27], v[48:49], v[34:35]
	v_pk_fma_f32 v[38:39], v[8:9], v[50:51], v[28:29] op_sel:[0,0,1] op_sel_hi:[0,1,0]
	v_pk_fma_f32 v[28:29], v[8:9], v[50:51], v[28:29] op_sel:[0,0,1] op_sel_hi:[0,1,0] neg_lo:[1,0,0] neg_hi:[1,0,0]
	v_mov_b32_e32 v39, v29
	v_mov_b32_e32 v3, v38
	v_pk_add_f32 v[24:25], v[48:49], v[34:35] neg_lo:[0,1] neg_hi:[0,1]
	v_fmac_f32_e32 v29, -0.5, v27
	v_fmac_f32_e32 v3, -0.5, v26
	v_fmamk_f32 v10, v24, 0xbf5db3d7, v29
	v_fmac_f32_e32 v29, 0x3f5db3d7, v24
	v_add_co_u32_e32 v24, vcc, s10, v32
	v_fmamk_f32 v8, v25, 0x3f5db3d7, v3
	v_fmac_f32_e32 v3, 0xbf5db3d7, v25
	v_addc_co_u32_e32 v25, vcc, 0, v33, vcc
	global_load_dwordx4 v[24:27], v[24:25], off offset:624
	v_mul_f32_e32 v5, 0.5, v29
	v_mul_f32_e32 v7, 0xbf5db3d7, v29
	v_pk_add_f32 v[28:29], v[38:39], v[48:49]
	v_fmac_f32_e32 v5, 0x3f5db3d7, v3
	v_pk_add_f32 v[28:29], v[28:29], v[34:35]
	global_load_dwordx2 v[40:41], v[30:31], off offset:32
	global_load_dwordx4 v[32:35], v[30:31], off offset:16
	v_fmac_f32_e32 v7, 0.5, v3
	v_add_u32_e32 v3, 0x1e0, v134
	v_mov_b32_e32 v69, v45
	v_sub_f32_e32 v39, v67, v5
	v_add_f32_e32 v45, v67, v5
	v_mul_hi_u32 v5, v3, s2
	v_pk_add_f32 v[12:13], v[12:13], v[64:65]
	v_lshrrev_b32_e32 v5, 6, v5
	v_pk_mul_f32 v[30:31], v[10:11], s[4:5] op_sel_hi:[0,1]
	v_sub_f32_e32 v38, v44, v7
	v_pk_add_f32 v[12:13], v[12:13], v[52:53]
	v_add_f32_e32 v44, v44, v7
	v_mul_u32_u24_e32 v7, 0x258, v5
	v_mov_b32_e32 v68, v66
	v_pk_fma_f32 v[30:31], v[8:9], s[0:1], v[30:31] op_sel_hi:[0,1,1] neg_lo:[0,0,1] neg_hi:[0,0,1]
	v_pk_add_f32 v[48:49], v[12:13], v[28:29] neg_lo:[0,1] neg_hi:[0,1]
	v_pk_add_f32 v[12:13], v[12:13], v[28:29]
	v_sub_u32_e32 v3, v3, v7
	global_store_dwordx2 v[46:47], v[12:13], off
	global_store_dwordx2 v[54:55], v[44:45], off
	v_pk_add_f32 v[12:13], v[68:69], v[30:31]
	v_mad_u32_u24 v3, v5, s3, v3
	v_pk_add_f32 v[42:43], v[68:69], v[30:31] neg_lo:[0,1] neg_hi:[0,1]
	global_store_dwordx2 v[56:57], v[12:13], off
	global_store_dwordx2 v[58:59], v[48:49], off
	;; [unrolled: 1-line block ×4, first 2 shown]
	v_mad_u64_u32 v[12:13], s[2:3], s16, v3, 0
	v_mov_b32_e32 v8, v13
	v_mad_u64_u32 v[28:29], s[2:3], s17, v3, v[8:9]
	v_add_u32_e32 v5, 0x258, v3
	v_mov_b32_e32 v13, v28
	v_mad_u64_u32 v[28:29], s[2:3], s16, v5, 0
	v_mov_b32_e32 v8, v29
	v_mad_u64_u32 v[30:31], s[2:3], s17, v5, v[8:9]
	v_add_u32_e32 v5, 0x4b0, v3
	v_mov_b32_e32 v29, v30
	;; [unrolled: 5-line block ×5, first 2 shown]
	v_mad_u64_u32 v[44:45], s[2:3], s16, v3, 0
	v_mov_b32_e32 v8, v45
	v_mov_b32_e32 v10, v23
	v_mad_u64_u32 v[46:47], s[2:3], s17, v3, v[8:9]
	v_mov_b32_e32 v8, v11
	v_mov_b32_e32 v45, v46
	v_lshl_add_u64 v[12:13], v[12:13], 3, v[36:37]
	v_lshl_add_u64 v[28:29], v[28:29], 3, v[36:37]
	v_lshl_add_u64 v[30:31], v[30:31], 3, v[36:37]
	v_lshl_add_u64 v[38:39], v[38:39], 3, v[36:37]
	v_lshl_add_u64 v[42:43], v[42:43], 3, v[36:37]
	v_lshl_add_u64 v[36:37], v[44:45], 3, v[36:37]
	s_waitcnt vmcnt(8)
	v_pk_mul_f32 v[22:23], v[26:27], v[10:11] op_sel_hi:[1,0]
	s_nop 0
	v_pk_fma_f32 v[10:11], v[8:9], v[26:27], v[22:23] op_sel:[0,0,1] op_sel_hi:[0,1,0] neg_lo:[1,0,0] neg_hi:[1,0,0]
	v_pk_fma_f32 v[44:45], v[8:9], v[26:27], v[22:23] op_sel:[0,0,1] op_sel_hi:[1,1,0]
	v_mov_b32_e32 v10, v21
	v_mov_b32_e32 v45, v11
	;; [unrolled: 1-line block ×3, first 2 shown]
	s_waitcnt vmcnt(6)
	v_pk_mul_f32 v[10:11], v[34:35], v[10:11] op_sel_hi:[1,0]
	v_pk_mul_f32 v[18:19], v[32:33], v[18:19] op_sel_hi:[1,0]
	v_pk_fma_f32 v[20:21], v[8:9], v[34:35], v[10:11] op_sel:[0,0,1] op_sel_hi:[1,1,0]
	v_pk_fma_f32 v[8:9], v[8:9], v[34:35], v[10:11] op_sel:[0,0,1] op_sel_hi:[0,1,0] neg_lo:[1,0,0] neg_hi:[1,0,0]
	v_pk_fma_f32 v[26:27], v[4:5], v[32:33], v[18:19] op_sel:[0,0,1] op_sel_hi:[1,1,0]
	v_pk_fma_f32 v[4:5], v[4:5], v[32:33], v[18:19] op_sel:[0,0,1] op_sel_hi:[0,1,0] neg_lo:[1,0,0] neg_hi:[1,0,0]
	v_mov_b32_e32 v21, v9
	v_mov_b32_e32 v27, v5
	v_pk_mul_f32 v[4:5], v[40:41], v[16:17] op_sel_hi:[1,0]
	v_pk_add_f32 v[8:9], v[44:45], v[20:21]
	v_pk_add_f32 v[10:11], v[44:45], v[20:21] neg_lo:[0,1] neg_hi:[0,1]
	v_pk_fma_f32 v[16:17], v[6:7], v[40:41], v[4:5] op_sel:[0,0,1] op_sel_hi:[1,1,0]
	v_pk_fma_f32 v[4:5], v[6:7], v[40:41], v[4:5] op_sel:[0,0,1] op_sel_hi:[0,1,0] neg_lo:[1,0,0] neg_hi:[1,0,0]
	v_pk_fma_f32 v[8:9], v[8:9], 0.5, v[0:1] op_sel_hi:[1,0,1] neg_lo:[1,0,0] neg_hi:[1,0,0]
	v_pk_mul_f32 v[10:11], v[10:11], s[4:5] op_sel_hi:[1,0]
	v_mov_b32_e32 v17, v5
	v_pk_mul_f32 v[6:7], v[24:25], v[14:15] op_sel_hi:[1,0]
	v_pk_add_f32 v[22:23], v[10:11], v[8:9] op_sel:[1,0] op_sel_hi:[0,1]
	v_pk_add_f32 v[8:9], v[8:9], v[10:11] op_sel:[0,1] op_sel_hi:[1,0] neg_lo:[0,1] neg_hi:[0,1]
	v_pk_add_f32 v[4:5], v[26:27], v[16:17]
	v_pk_fma_f32 v[14:15], v[2:3], v[24:25], v[6:7] op_sel:[0,0,1] op_sel_hi:[0,1,0]
	v_pk_fma_f32 v[2:3], v[2:3], v[24:25], v[6:7] op_sel:[0,0,1] op_sel_hi:[0,1,0] neg_lo:[1,0,0] neg_hi:[1,0,0]
	v_mov_b32_e32 v11, v9
	v_mov_b32_e32 v15, v3
	;; [unrolled: 1-line block ×3, first 2 shown]
	v_pk_add_f32 v[6:7], v[26:27], v[16:17] neg_lo:[0,1] neg_hi:[0,1]
	v_fmac_f32_e32 v3, -0.5, v5
	v_fmac_f32_e32 v9, -0.5, v4
	v_fmamk_f32 v4, v6, 0xbf5db3d7, v3
	v_fmac_f32_e32 v3, 0x3f5db3d7, v6
	v_fmamk_f32 v2, v7, 0x3f5db3d7, v9
	v_fmac_f32_e32 v9, 0xbf5db3d7, v7
	v_mul_f32_e32 v18, 0.5, v3
	v_fmac_f32_e32 v18, 0x3f5db3d7, v9
	v_pk_add_f32 v[6:7], v[14:15], v[26:27]
	v_pk_add_f32 v[0:1], v[0:1], v[44:45]
	v_mul_f32_e32 v19, 0xbf5db3d7, v3
	v_pk_add_f32 v[6:7], v[6:7], v[16:17]
	v_sub_f32_e32 v3, v23, v18
	v_pk_mul_f32 v[4:5], v[4:5], s[4:5] op_sel_hi:[0,1]
	v_pk_add_f32 v[0:1], v[0:1], v[20:21]
	v_mov_b32_e32 v10, v22
	v_fmac_f32_e32 v19, 0.5, v9
	v_pk_fma_f32 v[4:5], v[2:3], s[0:1], v[4:5] op_sel_hi:[0,1,1] neg_lo:[0,0,1] neg_hi:[0,0,1]
	v_pk_add_f32 v[16:17], v[0:1], v[6:7] neg_lo:[0,1] neg_hi:[0,1]
	v_pk_add_f32 v[0:1], v[0:1], v[6:7]
	v_sub_f32_e32 v2, v8, v19
	v_add_f32_e32 v9, v23, v18
	v_add_f32_e32 v8, v8, v19
	global_store_dwordx2 v[12:13], v[0:1], off
	global_store_dwordx2 v[28:29], v[8:9], off
	v_pk_add_f32 v[0:1], v[10:11], v[4:5]
	v_pk_add_f32 v[14:15], v[10:11], v[4:5] neg_lo:[0,1] neg_hi:[0,1]
	global_store_dwordx2 v[30:31], v[0:1], off
	global_store_dwordx2 v[38:39], v[16:17], off
	;; [unrolled: 1-line block ×4, first 2 shown]
.LBB0_15:
	s_endpgm
	.section	.rodata,"a",@progbits
	.p2align	6, 0x0
	.amdhsa_kernel fft_rtc_back_len3600_factors_10_10_6_6_wgs_120_tpt_120_halfLds_sp_op_CI_CI_sbrr_dirReg
		.amdhsa_group_segment_fixed_size 0
		.amdhsa_private_segment_fixed_size 0
		.amdhsa_kernarg_size 104
		.amdhsa_user_sgpr_count 2
		.amdhsa_user_sgpr_dispatch_ptr 0
		.amdhsa_user_sgpr_queue_ptr 0
		.amdhsa_user_sgpr_kernarg_segment_ptr 1
		.amdhsa_user_sgpr_dispatch_id 0
		.amdhsa_user_sgpr_kernarg_preload_length 0
		.amdhsa_user_sgpr_kernarg_preload_offset 0
		.amdhsa_user_sgpr_private_segment_size 0
		.amdhsa_uses_dynamic_stack 0
		.amdhsa_enable_private_segment 0
		.amdhsa_system_sgpr_workgroup_id_x 1
		.amdhsa_system_sgpr_workgroup_id_y 0
		.amdhsa_system_sgpr_workgroup_id_z 0
		.amdhsa_system_sgpr_workgroup_info 0
		.amdhsa_system_vgpr_workitem_id 0
		.amdhsa_next_free_vgpr 150
		.amdhsa_next_free_sgpr 32
		.amdhsa_accum_offset 152
		.amdhsa_reserve_vcc 1
		.amdhsa_float_round_mode_32 0
		.amdhsa_float_round_mode_16_64 0
		.amdhsa_float_denorm_mode_32 3
		.amdhsa_float_denorm_mode_16_64 3
		.amdhsa_dx10_clamp 1
		.amdhsa_ieee_mode 1
		.amdhsa_fp16_overflow 0
		.amdhsa_tg_split 0
		.amdhsa_exception_fp_ieee_invalid_op 0
		.amdhsa_exception_fp_denorm_src 0
		.amdhsa_exception_fp_ieee_div_zero 0
		.amdhsa_exception_fp_ieee_overflow 0
		.amdhsa_exception_fp_ieee_underflow 0
		.amdhsa_exception_fp_ieee_inexact 0
		.amdhsa_exception_int_div_zero 0
	.end_amdhsa_kernel
	.text
.Lfunc_end0:
	.size	fft_rtc_back_len3600_factors_10_10_6_6_wgs_120_tpt_120_halfLds_sp_op_CI_CI_sbrr_dirReg, .Lfunc_end0-fft_rtc_back_len3600_factors_10_10_6_6_wgs_120_tpt_120_halfLds_sp_op_CI_CI_sbrr_dirReg
                                        ; -- End function
	.section	.AMDGPU.csdata,"",@progbits
; Kernel info:
; codeLenInByte = 18248
; NumSgprs: 38
; NumVgprs: 150
; NumAgprs: 0
; TotalNumVgprs: 150
; ScratchSize: 0
; MemoryBound: 0
; FloatMode: 240
; IeeeMode: 1
; LDSByteSize: 0 bytes/workgroup (compile time only)
; SGPRBlocks: 4
; VGPRBlocks: 18
; NumSGPRsForWavesPerEU: 38
; NumVGPRsForWavesPerEU: 150
; AccumOffset: 152
; Occupancy: 3
; WaveLimiterHint : 1
; COMPUTE_PGM_RSRC2:SCRATCH_EN: 0
; COMPUTE_PGM_RSRC2:USER_SGPR: 2
; COMPUTE_PGM_RSRC2:TRAP_HANDLER: 0
; COMPUTE_PGM_RSRC2:TGID_X_EN: 1
; COMPUTE_PGM_RSRC2:TGID_Y_EN: 0
; COMPUTE_PGM_RSRC2:TGID_Z_EN: 0
; COMPUTE_PGM_RSRC2:TIDIG_COMP_CNT: 0
; COMPUTE_PGM_RSRC3_GFX90A:ACCUM_OFFSET: 37
; COMPUTE_PGM_RSRC3_GFX90A:TG_SPLIT: 0
	.text
	.p2alignl 6, 3212836864
	.fill 256, 4, 3212836864
	.type	__hip_cuid_ab987746a7987252,@object ; @__hip_cuid_ab987746a7987252
	.section	.bss,"aw",@nobits
	.globl	__hip_cuid_ab987746a7987252
__hip_cuid_ab987746a7987252:
	.byte	0                               ; 0x0
	.size	__hip_cuid_ab987746a7987252, 1

	.ident	"AMD clang version 19.0.0git (https://github.com/RadeonOpenCompute/llvm-project roc-6.4.0 25133 c7fe45cf4b819c5991fe208aaa96edf142730f1d)"
	.section	".note.GNU-stack","",@progbits
	.addrsig
	.addrsig_sym __hip_cuid_ab987746a7987252
	.amdgpu_metadata
---
amdhsa.kernels:
  - .agpr_count:     0
    .args:
      - .actual_access:  read_only
        .address_space:  global
        .offset:         0
        .size:           8
        .value_kind:     global_buffer
      - .offset:         8
        .size:           8
        .value_kind:     by_value
      - .actual_access:  read_only
        .address_space:  global
        .offset:         16
        .size:           8
        .value_kind:     global_buffer
      - .actual_access:  read_only
        .address_space:  global
        .offset:         24
        .size:           8
        .value_kind:     global_buffer
      - .actual_access:  read_only
        .address_space:  global
        .offset:         32
        .size:           8
        .value_kind:     global_buffer
      - .offset:         40
        .size:           8
        .value_kind:     by_value
      - .actual_access:  read_only
        .address_space:  global
        .offset:         48
        .size:           8
        .value_kind:     global_buffer
      - .actual_access:  read_only
        .address_space:  global
        .offset:         56
        .size:           8
        .value_kind:     global_buffer
      - .offset:         64
        .size:           4
        .value_kind:     by_value
      - .actual_access:  read_only
        .address_space:  global
        .offset:         72
        .size:           8
        .value_kind:     global_buffer
      - .actual_access:  read_only
        .address_space:  global
        .offset:         80
        .size:           8
        .value_kind:     global_buffer
      - .actual_access:  read_only
        .address_space:  global
        .offset:         88
        .size:           8
        .value_kind:     global_buffer
      - .actual_access:  write_only
        .address_space:  global
        .offset:         96
        .size:           8
        .value_kind:     global_buffer
    .group_segment_fixed_size: 0
    .kernarg_segment_align: 8
    .kernarg_segment_size: 104
    .language:       OpenCL C
    .language_version:
      - 2
      - 0
    .max_flat_workgroup_size: 120
    .name:           fft_rtc_back_len3600_factors_10_10_6_6_wgs_120_tpt_120_halfLds_sp_op_CI_CI_sbrr_dirReg
    .private_segment_fixed_size: 0
    .sgpr_count:     38
    .sgpr_spill_count: 0
    .symbol:         fft_rtc_back_len3600_factors_10_10_6_6_wgs_120_tpt_120_halfLds_sp_op_CI_CI_sbrr_dirReg.kd
    .uniform_work_group_size: 1
    .uses_dynamic_stack: false
    .vgpr_count:     150
    .vgpr_spill_count: 0
    .wavefront_size: 64
amdhsa.target:   amdgcn-amd-amdhsa--gfx950
amdhsa.version:
  - 1
  - 2
...

	.end_amdgpu_metadata
